;; amdgpu-corpus repo=ROCm/rocFFT kind=compiled arch=gfx950 opt=O3
	.text
	.amdgcn_target "amdgcn-amd-amdhsa--gfx950"
	.amdhsa_code_object_version 6
	.protected	bluestein_single_back_len408_dim1_dp_op_CI_CI ; -- Begin function bluestein_single_back_len408_dim1_dp_op_CI_CI
	.globl	bluestein_single_back_len408_dim1_dp_op_CI_CI
	.p2align	8
	.type	bluestein_single_back_len408_dim1_dp_op_CI_CI,@function
bluestein_single_back_len408_dim1_dp_op_CI_CI: ; @bluestein_single_back_len408_dim1_dp_op_CI_CI
; %bb.0:
	s_load_dwordx4 s[12:15], s[0:1], 0x28
	v_mul_u32_u24_e32 v1, 0xf10, v0
	v_lshrrev_b32_e32 v2, 16, v1
	v_mad_u64_u32 v[10:11], s[2:3], s2, 3, v[2:3]
	v_mov_b32_e32 v227, 0
	v_mov_b32_e32 v11, v227
	s_waitcnt lgkmcnt(0)
	v_cmp_gt_u64_e32 vcc, s[12:13], v[10:11]
	s_and_saveexec_b64 s[2:3], vcc
	s_cbranch_execz .LBB0_15
; %bb.1:
	s_load_dwordx4 s[4:7], s[0:1], 0x18
	s_load_dwordx2 s[12:13], s[0:1], 0x0
	v_mul_lo_u16_e32 v1, 17, v2
	v_sub_u16_e32 v226, v0, v1
	v_mov_b32_e32 v4, s14
	s_waitcnt lgkmcnt(0)
	s_load_dwordx4 s[8:11], s[4:5], 0x0
	s_mov_b32 s4, 0xaaaaaaab
	v_mov_b32_e32 v5, s15
	v_mul_hi_u32 v8, v10, s4
	v_or_b32_e32 v23, 0x60, v226
	s_waitcnt lgkmcnt(0)
	v_mad_u64_u32 v[0:1], s[2:3], s10, v10, 0
	v_mov_b32_e32 v2, v1
	v_mad_u64_u32 v[2:3], s[2:3], s11, v10, v[2:3]
	v_mov_b32_e32 v1, v2
	;; [unrolled: 2-line block ×4, first 2 shown]
	v_lshl_add_u64 v[4:5], v[0:1], 4, v[4:5]
	v_lshrrev_b32_e32 v8, 1, v8
	s_mul_i32 s11, s9, 24
	s_mul_hi_u32 s17, s8, 24
	v_mad_u64_u32 v[20:21], s[14:15], s8, v23, 0
	v_lshl_add_u64 v[6:7], v[2:3], 4, v[4:5]
	v_lshlrev_b32_e32 v72, 4, v226
	v_or_b32_e32 v25, 0xc0, v226
	v_lshl_add_u32 v8, v8, 1, v8
	s_mul_i32 s10, s8, 24
	s_add_i32 s11, s17, s11
	v_mov_b32_e32 v22, v21
	global_load_dwordx4 v[0:3], v[6:7], off
	global_load_dwordx4 v[82:85], v72, s[12:13]
	v_sub_u32_e32 v8, v10, v8
	s_lshl_b64 s[10:11], s[10:11], 4
	v_mad_u64_u32 v[28:29], s[14:15], s8, v25, 0
	v_accvgpr_write_b32 a34, v23            ;  Reload Reuse
	v_mad_u64_u32 v[22:23], s[14:15], s9, v23, v[22:23]
	v_mul_u32_u24_e32 v8, 0x198, v8
	v_lshl_add_u64 v[6:7], v[6:7], 0, s[10:11]
	v_mov_b32_e32 v24, v29
	v_mov_b32_e32 v21, v22
	v_accvgpr_write_b32 a4, v10
	s_load_dwordx4 s[4:7], s[6:7], 0x0
	global_load_dwordx4 v[150:153], v72, s[12:13] offset:384
	global_load_dwordx4 v[146:149], v72, s[12:13] offset:768
	;; [unrolled: 1-line block ×10, first 2 shown]
	v_accvgpr_write_b32 a121, v8
	v_lshlrev_b32_e32 v138, 4, v8
	global_load_dwordx4 v[8:11], v[6:7], off
	v_lshl_add_u64 v[20:21], v[20:21], 4, v[4:5]
	global_load_dwordx4 v[20:23], v[20:21], off
	v_mad_u64_u32 v[30:31], s[14:15], s9, v25, v[24:25]
	v_lshl_add_u64 v[6:7], v[6:7], 0, s[10:11]
	v_mov_b32_e32 v29, v30
	global_load_dwordx4 v[12:15], v[6:7], off
	v_lshl_add_u64 v[28:29], v[28:29], 4, v[4:5]
	global_load_dwordx4 v[28:31], v[28:29], off
	v_lshl_add_u64 v[6:7], v[6:7], 0, s[10:11]
	global_load_dwordx4 v[16:19], v[6:7], off
	v_mov_b32_e32 v60, 0x300
	s_mul_i32 s17, s9, 0x300
	v_mad_u64_u32 v[6:7], s[14:15], s8, v60, v[6:7]
	v_add_u32_e32 v7, s17, v7
	v_accvgpr_write_b32 a35, v25            ;  Reload Reuse
	global_load_dwordx4 v[24:27], v[6:7], off
	v_lshl_add_u64 v[6:7], v[6:7], 0, s[10:11]
	global_load_dwordx4 v[32:35], v[6:7], off
	v_lshl_add_u64 v[6:7], v[6:7], 0, s[10:11]
	global_load_dwordx4 v[36:39], v[6:7], off
	v_mov_b32_e32 v73, v227
	s_movk_i32 s16, 0x1000
	v_lshl_add_u64 v[54:55], s[12:13], 0, v[72:73]
	v_mad_u64_u32 v[6:7], s[14:15], s8, v60, v[6:7]
	v_add_u32_e32 v7, s17, v7
	v_add_co_u32_e32 v68, vcc, s16, v54
	v_or_b32_e32 v61, 0x120, v226
	global_load_dwordx4 v[40:43], v[6:7], off
	v_addc_co_u32_e32 v69, vcc, 0, v55, vcc
	scratch_store_dwordx2 off, v[54:55], off offset:8 ; 8-byte Folded Spill
	v_mad_u64_u32 v[54:55], s[14:15], s8, v61, 0
	v_lshl_add_u64 v[6:7], v[6:7], 0, s[10:11]
	v_mov_b32_e32 v56, v55
	global_load_dwordx4 v[44:47], v[6:7], off
	v_mad_u64_u32 v[56:57], s[14:15], s9, v61, v[56:57]
	v_lshl_add_u64 v[6:7], v[6:7], 0, s[10:11]
	v_mov_b32_e32 v55, v56
	global_load_dwordx4 v[48:51], v[6:7], off
	v_lshl_add_u64 v[54:55], v[54:55], 4, v[4:5]
	global_load_dwordx4 v[118:121], v[68:69], off offset:128
	global_load_dwordx4 v[56:59], v[54:55], off
	v_lshlrev_b32_e32 v54, 4, v61
	global_load_dwordx4 v[94:97], v54, s[12:13]
	v_mad_u64_u32 v[6:7], s[14:15], s8, v60, v[6:7]
	scratch_store_dword off, v61, off       ; 4-byte Folded Spill
	v_add_u32_e32 v7, s17, v7
	global_load_dwordx4 v[60:63], v[6:7], off
	global_load_dwordx4 v[98:101], v[68:69], off offset:896
	v_or_b32_e32 v73, 0x180, v226
	v_accvgpr_write_b32 a5, v54
	v_lshl_add_u64 v[6:7], v[6:7], 0, s[10:11]
	v_mad_u64_u32 v[54:55], s[14:15], s8, v73, 0
	global_load_dwordx4 v[64:67], v[6:7], off
	v_lshl_add_u64 v[6:7], v[6:7], 0, s[10:11]
	v_mov_b32_e32 v70, v55
	global_load_dwordx4 v[74:77], v[6:7], off
	global_load_dwordx4 v[110:113], v[68:69], off offset:1280
	global_load_dwordx4 v[90:93], v[68:69], off offset:1664
	v_mad_u64_u32 v[70:71], s[14:15], s9, v73, v[70:71]
	v_mov_b32_e32 v55, v70
	v_lshl_add_u64 v[4:5], v[54:55], 4, v[4:5]
	scratch_store_dword off, v73, off offset:4 ; 4-byte Folded Spill
	v_lshlrev_b32_e32 v73, 4, v73
	global_load_dwordx4 v[78:81], v[4:5], off
	global_load_dwordx4 v[106:109], v73, s[12:13]
	s_waitcnt vmcnt(35)
	v_mul_f64 v[52:53], v[2:3], v[84:85]
	v_fmac_f64_e32 v[52:53], v[0:1], v[82:83]
	v_mul_f64 v[0:1], v[0:1], v[84:85]
	v_fma_f64 v[54:55], v[2:3], v[82:83], -v[0:1]
	v_add_u32_e32 v140, v72, v138
	s_load_dwordx2 s[2:3], s[0:1], 0x38
	v_accvgpr_write_b32 a6, v82
	s_waitcnt vmcnt(34)
	v_accvgpr_write_b32 a72, v150
	s_waitcnt vmcnt(24)
	v_mul_f64 v[0:1], v[10:11], v[152:153]
	v_mul_f64 v[2:3], v[8:9], v[152:153]
	v_fmac_f64_e32 v[0:1], v[8:9], v[150:151]
	v_fma_f64 v[2:3], v[10:11], v[150:151], -v[2:3]
	ds_write_b128 v140, v[0:3] offset:384
	v_accvgpr_write_b32 a68, v146
	v_accvgpr_write_b32 a64, v142
	s_waitcnt vmcnt(22)
	v_mul_f64 v[0:1], v[14:15], v[148:149]
	v_mul_f64 v[2:3], v[12:13], v[148:149]
	v_fmac_f64_e32 v[0:1], v[12:13], v[146:147]
	v_fma_f64 v[2:3], v[14:15], v[146:147], -v[2:3]
	ds_write_b128 v140, v[0:3] offset:768
	s_waitcnt vmcnt(20)
	v_mul_f64 v[0:1], v[18:19], v[144:145]
	v_mul_f64 v[2:3], v[16:17], v[144:145]
	v_fmac_f64_e32 v[0:1], v[16:17], v[142:143]
	v_fma_f64 v[2:3], v[18:19], v[142:143], -v[2:3]
	ds_write_b128 v140, v[0:3] offset:1152
	v_mul_f64 v[0:1], v[22:23], v[136:137]
	v_mul_f64 v[2:3], v[20:21], v[136:137]
	v_fmac_f64_e32 v[0:1], v[20:21], v[134:135]
	v_fma_f64 v[2:3], v[22:23], v[134:135], -v[2:3]
	ds_write_b128 v140, v[0:3] offset:1536
	s_waitcnt vmcnt(19)
	v_mul_f64 v[0:1], v[26:27], v[132:133]
	v_mul_f64 v[2:3], v[24:25], v[132:133]
	v_fmac_f64_e32 v[0:1], v[24:25], v[130:131]
	v_fma_f64 v[2:3], v[26:27], v[130:131], -v[2:3]
	ds_write_b128 v140, v[0:3] offset:1920
	s_waitcnt vmcnt(18)
	;; [unrolled: 6-line block ×3, first 2 shown]
	v_mul_f64 v[0:1], v[38:39], v[124:125]
	v_mul_f64 v[2:3], v[36:37], v[124:125]
	v_fmac_f64_e32 v[0:1], v[36:37], v[122:123]
	v_fma_f64 v[2:3], v[38:39], v[122:123], -v[2:3]
	ds_write_b128 v140, v[0:3] offset:2688
	v_mul_f64 v[0:1], v[30:31], v[116:117]
	v_mul_f64 v[2:3], v[28:29], v[116:117]
	v_fmac_f64_e32 v[0:1], v[28:29], v[114:115]
	v_fma_f64 v[2:3], v[30:31], v[114:115], -v[2:3]
	ds_write_b128 v140, v[0:3] offset:3072
	s_waitcnt vmcnt(16)
	v_mul_f64 v[0:1], v[42:43], v[104:105]
	v_mul_f64 v[2:3], v[40:41], v[104:105]
	v_fmac_f64_e32 v[0:1], v[40:41], v[102:103]
	v_fma_f64 v[2:3], v[42:43], v[102:103], -v[2:3]
	ds_write_b128 v140, v[0:3] offset:3456
	s_waitcnt vmcnt(14)
	;; [unrolled: 6-line block ×7, first 2 shown]
	v_mul_f64 v[0:1], v[76:77], v[92:93]
	v_mul_f64 v[2:3], v[74:75], v[92:93]
	v_fmac_f64_e32 v[0:1], v[74:75], v[90:91]
	v_fma_f64 v[2:3], v[76:77], v[90:91], -v[2:3]
	v_accvgpr_write_b32 a60, v134
	v_accvgpr_write_b32 a56, v130
	;; [unrolled: 1-line block ×12, first 2 shown]
	ds_write_b128 v140, v[0:3] offset:5760
	s_waitcnt vmcnt(0)
	v_mul_f64 v[0:1], v[80:81], v[108:109]
	v_mul_f64 v[2:3], v[78:79], v[108:109]
	v_accvgpr_write_b32 a7, v83
	v_accvgpr_write_b32 a8, v84
	v_accvgpr_write_b32 a9, v85
	v_accvgpr_write_b32 a73, v151
	v_accvgpr_write_b32 a74, v152
	v_accvgpr_write_b32 a75, v153
	v_accvgpr_write_b32 a69, v147
	v_accvgpr_write_b32 a70, v148
	v_accvgpr_write_b32 a71, v149
	v_accvgpr_write_b32 a65, v143
	v_accvgpr_write_b32 a66, v144
	v_accvgpr_write_b32 a67, v145
	v_accvgpr_write_b32 a61, v135
	v_accvgpr_write_b32 a62, v136
	v_accvgpr_write_b32 a63, v137
	v_accvgpr_write_b32 a57, v131
	v_accvgpr_write_b32 a58, v132
	v_accvgpr_write_b32 a59, v133
	v_accvgpr_write_b32 a53, v127
	v_accvgpr_write_b32 a54, v128
	v_accvgpr_write_b32 a55, v129
	v_accvgpr_write_b32 a49, v123
	v_accvgpr_write_b32 a50, v124
	v_accvgpr_write_b32 a51, v125
	v_accvgpr_write_b32 a41, v115
	v_accvgpr_write_b32 a42, v116
	v_accvgpr_write_b32 a43, v117
	v_accvgpr_write_b32 a27, v103
	v_accvgpr_write_b32 a28, v104
	v_accvgpr_write_b32 a29, v105
	v_accvgpr_write_b32 a11, v87
	v_accvgpr_write_b32 a12, v88
	v_accvgpr_write_b32 a13, v89
	v_accvgpr_write_b32 a45, v119
	v_accvgpr_write_b32 a46, v120
	v_accvgpr_write_b32 a47, v121
	v_accvgpr_write_b32 a19, v95
	v_accvgpr_write_b32 a20, v96
	v_accvgpr_write_b32 a21, v97
	v_accvgpr_write_b32 a23, v99
	v_accvgpr_write_b32 a24, v100
	v_accvgpr_write_b32 a25, v101
	v_accvgpr_write_b32 a37, v111
	v_accvgpr_write_b32 a38, v112
	v_accvgpr_write_b32 a39, v113
	v_accvgpr_write_b32 a15, v91
	v_accvgpr_write_b32 a16, v92
	v_accvgpr_write_b32 a17, v93
	v_fmac_f64_e32 v[0:1], v[78:79], v[106:107]
	v_fma_f64 v[2:3], v[80:81], v[106:107], -v[2:3]
	v_cmp_gt_u16_e32 vcc, 7, v226
	ds_write_b128 v140, v[52:55]
	scratch_store_dwordx4 off, v[106:109], off offset:16 ; 16-byte Folded Spill
	ds_write_b128 v140, v[0:3] offset:6144
	s_and_saveexec_b64 s[14:15], vcc
	s_cbranch_execz .LBB0_3
; %bb.2:
	v_mov_b32_e32 v0, 0xffffea90
	s_mulk_i32 s9, 0xea90
	v_mad_u64_u32 v[8:9], s[16:17], s8, v0, v[6:7]
	s_sub_i32 s8, s9, s8
	v_add_u32_e32 v9, s8, v9
	global_load_dwordx4 v[0:3], v[8:9], off
	scratch_load_dwordx2 v[78:79], off, off offset:8 ; 8-byte Folded Reload
	v_lshl_add_u64 v[16:17], v[8:9], 0, s[10:11]
	v_lshl_add_u64 v[28:29], v[16:17], 0, s[10:11]
	;; [unrolled: 1-line block ×8, first 2 shown]
	s_waitcnt vmcnt(0)
	global_load_dwordx4 v[4:7], v[78:79], off offset:272
	global_load_dwordx4 v[8:11], v[16:17], off
	global_load_dwordx4 v[12:15], v[78:79], off offset:656
	s_nop 0
	global_load_dwordx4 v[16:19], v[28:29], off
	global_load_dwordx4 v[20:23], v[78:79], off offset:1040
	global_load_dwordx4 v[24:27], v[78:79], off offset:1424
	s_waitcnt vmcnt(5)
	v_mul_f64 v[142:143], v[2:3], v[6:7]
	global_load_dwordx4 v[28:31], v[32:33], off
	s_nop 0
	global_load_dwordx4 v[32:35], v[44:45], off
	global_load_dwordx4 v[36:39], v[78:79], off offset:1808
	global_load_dwordx4 v[40:43], v[78:79], off offset:2192
	v_mul_f64 v[6:7], v[0:1], v[6:7]
	global_load_dwordx4 v[44:47], v[48:49], off
	s_nop 0
	global_load_dwordx4 v[48:51], v[60:61], off
	global_load_dwordx4 v[52:55], v[78:79], off offset:2576
	global_load_dwordx4 v[56:59], v[78:79], off offset:2960
	v_fmac_f64_e32 v[142:143], v[0:1], v[4:5]
	global_load_dwordx4 v[60:63], v[64:65], off
	s_nop 0
	global_load_dwordx4 v[64:67], v[70:71], off
	global_load_dwordx4 v[74:77], v[78:79], off offset:3344
	s_nop 0
	global_load_dwordx4 v[78:81], v[78:79], off offset:3728
	v_lshl_add_u64 v[70:71], v[70:71], 0, s[10:11]
	global_load_dwordx4 v[82:85], v[70:71], off
	v_lshl_add_u64 v[70:71], v[70:71], 0, s[10:11]
	global_load_dwordx4 v[86:89], v[70:71], off
	global_load_dwordx4 v[90:93], v[68:69], off offset:16
	global_load_dwordx4 v[94:97], v[68:69], off offset:400
	v_lshl_add_u64 v[70:71], v[70:71], 0, s[10:11]
	global_load_dwordx4 v[98:101], v[70:71], off
	v_lshl_add_u64 v[70:71], v[70:71], 0, s[10:11]
	global_load_dwordx4 v[102:105], v[70:71], off
	global_load_dwordx4 v[106:109], v[68:69], off offset:784
	;; [unrolled: 6-line block ×3, first 2 shown]
	global_load_dwordx4 v[126:129], v[68:69], off offset:1936
	v_lshl_add_u64 v[134:135], v[70:71], 0, s[10:11]
	global_load_dwordx4 v[130:133], v[134:135], off
	s_nop 0
	global_load_dwordx4 v[68:71], v[68:69], off offset:2320
	v_lshl_add_u64 v[134:135], v[134:135], 0, s[10:11]
	global_load_dwordx4 v[134:137], v[134:135], off
	v_fma_f64 v[144:145], v[2:3], v[4:5], -v[6:7]
	s_waitcnt vmcnt(30)
	v_mul_f64 v[0:1], v[10:11], v[14:15]
	v_mul_f64 v[2:3], v[8:9], v[14:15]
	v_fmac_f64_e32 v[0:1], v[8:9], v[12:13]
	v_fma_f64 v[2:3], v[10:11], v[12:13], -v[2:3]
	ds_write_b128 v140, v[0:3] offset:656
	s_waitcnt vmcnt(28)
	v_mul_f64 v[4:5], v[18:19], v[22:23]
	v_mul_f64 v[6:7], v[16:17], v[22:23]
	v_fmac_f64_e32 v[4:5], v[16:17], v[20:21]
	v_fma_f64 v[6:7], v[18:19], v[20:21], -v[6:7]
	ds_write_b128 v140, v[4:7] offset:1040
	ds_write_b128 v140, v[142:145] offset:272
	s_waitcnt vmcnt(26)
	v_mul_f64 v[0:1], v[30:31], v[26:27]
	v_mul_f64 v[2:3], v[28:29], v[26:27]
	v_fmac_f64_e32 v[0:1], v[28:29], v[24:25]
	v_fma_f64 v[2:3], v[30:31], v[24:25], -v[2:3]
	ds_write_b128 v140, v[0:3] offset:1424
	s_waitcnt vmcnt(22)
	v_mul_f64 v[0:1], v[46:47], v[42:43]
	v_mul_f64 v[2:3], v[44:45], v[42:43]
	v_fmac_f64_e32 v[0:1], v[44:45], v[40:41]
	v_fma_f64 v[2:3], v[46:47], v[40:41], -v[2:3]
	;; [unrolled: 6-line block ×10, first 2 shown]
	v_mul_f64 v[4:5], v[34:35], v[38:39]
	v_mul_f64 v[6:7], v[32:33], v[38:39]
	ds_write_b128 v140, v[0:3] offset:5648
	s_waitcnt vmcnt(2)
	v_mul_f64 v[0:1], v[132:133], v[128:129]
	v_mul_f64 v[2:3], v[130:131], v[128:129]
	v_fmac_f64_e32 v[4:5], v[32:33], v[36:37]
	v_fma_f64 v[6:7], v[34:35], v[36:37], -v[6:7]
	v_fmac_f64_e32 v[0:1], v[130:131], v[126:127]
	v_fma_f64 v[2:3], v[132:133], v[126:127], -v[2:3]
	ds_write_b128 v140, v[4:7] offset:1808
	v_mul_f64 v[4:5], v[50:51], v[54:55]
	v_mul_f64 v[6:7], v[48:49], v[54:55]
	ds_write_b128 v140, v[0:3] offset:6032
	s_waitcnt vmcnt(0)
	v_mul_f64 v[0:1], v[136:137], v[70:71]
	v_mul_f64 v[2:3], v[134:135], v[70:71]
	v_fmac_f64_e32 v[4:5], v[48:49], v[52:53]
	v_fma_f64 v[6:7], v[50:51], v[52:53], -v[6:7]
	v_fmac_f64_e32 v[0:1], v[134:135], v[68:69]
	v_fma_f64 v[2:3], v[136:137], v[68:69], -v[2:3]
	ds_write_b128 v140, v[4:7] offset:2576
	ds_write_b128 v140, v[0:3] offset:6416
.LBB0_3:
	s_or_b64 exec, exec, s[14:15]
	s_waitcnt lgkmcnt(0)
	; wave barrier
	s_waitcnt lgkmcnt(0)
	ds_read_b128 v[56:59], v140
	ds_read_b128 v[64:67], v140 offset:384
	ds_read_b128 v[52:55], v140 offset:768
	;; [unrolled: 1-line block ×16, first 2 shown]
	s_load_dwordx2 s[0:1], s[0:1], 0x8
	v_accvgpr_write_b32 a3, v138
                                        ; implicit-def: $vgpr108_vgpr109
                                        ; implicit-def: $vgpr116_vgpr117
                                        ; implicit-def: $vgpr128_vgpr129
                                        ; implicit-def: $vgpr136_vgpr137
                                        ; implicit-def: $vgpr92_vgpr93
                                        ; implicit-def: $vgpr144_vgpr145
                                        ; implicit-def: $vgpr148_vgpr149
                                        ; implicit-def: $vgpr152_vgpr153
                                        ; implicit-def: $vgpr156_vgpr157
                                        ; implicit-def: $vgpr160_vgpr161
                                        ; implicit-def: $vgpr164_vgpr165
                                        ; implicit-def: $vgpr168_vgpr169
                                        ; implicit-def: $vgpr172_vgpr173
                                        ; implicit-def: $vgpr132_vgpr133
                                        ; implicit-def: $vgpr124_vgpr125
                                        ; implicit-def: $vgpr120_vgpr121
                                        ; implicit-def: $vgpr112_vgpr113
	s_and_saveexec_b64 s[8:9], vcc
	s_cbranch_execz .LBB0_5
; %bb.4:
	ds_read_b128 v[112:115], v140 offset:272
	ds_read_b128 v[108:111], v140 offset:656
	;; [unrolled: 1-line block ×17, first 2 shown]
.LBB0_5:
	s_or_b64 exec, exec, s[8:9]
	v_lshl_add_u64 v[0:1], v[226:227], 0, 17
	s_waitcnt lgkmcnt(0)
	v_add_f64 v[2:3], v[58:59], v[66:67]
	v_accvgpr_write_b32 a120, v0
	v_add_f64 v[0:1], v[56:57], v[64:65]
	v_add_f64 v[2:3], v[2:3], v[54:55]
	;; [unrolled: 1-line block ×31, first 2 shown]
	v_accvgpr_write_b32 a125, v3
	s_mov_b32 s44, 0x5d8e7cdc
	s_mov_b32 s48, 0x2a9d6da3
	;; [unrolled: 1-line block ×8, first 2 shown]
	v_accvgpr_write_b32 a124, v2
	v_accvgpr_write_b32 a123, v1
	;; [unrolled: 1-line block ×3, first 2 shown]
	v_add_f64 v[0:1], v[64:65], v[68:69]
	v_add_f64 v[64:65], v[64:65], -v[68:69]
	s_mov_b32 s45, 0xbfd71e95
	s_mov_b32 s8, 0x370991
	;; [unrolled: 1-line block ×16, first 2 shown]
	v_add_f64 v[2:3], v[66:67], v[70:71]
	v_add_f64 v[66:67], v[66:67], -v[70:71]
	s_mov_b32 s9, 0x3fedd6d0
	v_mul_f64 v[74:75], v[64:65], s[44:45]
	s_mov_b32 s15, 0x3fe7a5f6
	v_mul_f64 v[82:83], v[64:65], s[48:49]
	;; [unrolled: 2-line block ×8, first 2 shown]
	v_mul_f64 v[68:69], v[66:67], s[44:45]
	v_fma_f64 v[76:77], s[8:9], v[2:3], v[74:75]
	v_fma_f64 v[74:75], v[2:3], s[8:9], -v[74:75]
	v_mul_f64 v[78:79], v[66:67], s[48:49]
	v_fma_f64 v[84:85], s[14:15], v[2:3], v[82:83]
	v_fma_f64 v[82:83], v[2:3], s[14:15], -v[82:83]
	;; [unrolled: 3-line block ×8, first 2 shown]
	v_fma_f64 v[70:71], v[0:1], s[8:9], -v[68:69]
	v_add_f64 v[76:77], v[58:59], v[76:77]
	v_fmac_f64_e32 v[68:69], s[8:9], v[0:1]
	v_add_f64 v[74:75], v[58:59], v[74:75]
	v_fma_f64 v[80:81], v[0:1], s[14:15], -v[78:79]
	v_add_f64 v[84:85], v[58:59], v[84:85]
	v_fmac_f64_e32 v[78:79], s[14:15], v[0:1]
	v_add_f64 v[82:83], v[58:59], v[82:83]
	;; [unrolled: 4-line block ×8, first 2 shown]
	v_add_f64 v[58:59], v[54:55], v[62:63]
	v_add_f64 v[54:55], v[54:55], -v[62:63]
	v_add_f64 v[70:71], v[56:57], v[70:71]
	v_add_f64 v[68:69], v[56:57], v[68:69]
	;; [unrolled: 1-line block ×17, first 2 shown]
	v_add_f64 v[52:53], v[52:53], -v[60:61]
	v_mul_f64 v[60:61], v[54:55], s[48:49]
	v_fma_f64 v[62:63], v[56:57], s[14:15], -v[60:61]
	v_fmac_f64_e32 v[60:61], s[14:15], v[56:57]
	v_mul_f64 v[64:65], v[52:53], s[48:49]
	v_add_f64 v[60:61], v[60:61], v[68:69]
	v_mul_f64 v[68:69], v[54:55], s[46:47]
	v_add_f64 v[62:63], v[62:63], v[70:71]
	v_fma_f64 v[66:67], s[14:15], v[58:59], v[64:65]
	v_fma_f64 v[64:65], v[58:59], s[14:15], -v[64:65]
	v_fma_f64 v[70:71], v[56:57], s[18:19], -v[68:69]
	v_fmac_f64_e32 v[68:69], s[18:19], v[56:57]
	v_add_f64 v[64:65], v[64:65], v[74:75]
	v_mul_f64 v[74:75], v[52:53], s[46:47]
	v_add_f64 v[68:69], v[68:69], v[78:79]
	v_mul_f64 v[78:79], v[54:55], s[30:31]
	v_add_f64 v[66:67], v[66:67], v[76:77]
	v_add_f64 v[70:71], v[70:71], v[80:81]
	v_fma_f64 v[76:77], s[18:19], v[58:59], v[74:75]
	v_fma_f64 v[74:75], v[58:59], s[18:19], -v[74:75]
	v_fma_f64 v[80:81], v[56:57], s[20:21], -v[78:79]
	v_fmac_f64_e32 v[78:79], s[20:21], v[56:57]
	v_add_f64 v[74:75], v[74:75], v[82:83]
	v_mul_f64 v[82:83], v[52:53], s[30:31]
	v_add_f64 v[78:79], v[78:79], v[86:87]
	v_mul_f64 v[86:87], v[54:55], s[42:43]
	v_add_f64 v[76:77], v[76:77], v[84:85]
	v_add_f64 v[80:81], v[80:81], v[88:89]
	v_fma_f64 v[84:85], s[20:21], v[58:59], v[82:83]
	v_fma_f64 v[82:83], v[58:59], s[20:21], -v[82:83]
	v_fma_f64 v[88:89], v[56:57], s[24:25], -v[86:87]
	v_fmac_f64_e32 v[86:87], s[24:25], v[56:57]
	s_mov_b32 s57, 0x3fe0d888
	s_mov_b32 s56, s36
	v_add_f64 v[82:83], v[82:83], v[90:91]
	v_mul_f64 v[90:91], v[52:53], s[42:43]
	v_add_f64 v[86:87], v[86:87], v[98:99]
	v_mul_f64 v[98:99], v[54:55], s[56:57]
	v_add_f64 v[84:85], v[84:85], v[96:97]
	v_add_f64 v[88:89], v[88:89], v[100:101]
	v_fma_f64 v[96:97], s[24:25], v[58:59], v[90:91]
	v_fma_f64 v[90:91], v[58:59], s[24:25], -v[90:91]
	v_fma_f64 v[100:101], v[56:57], s[22:23], -v[98:99]
	v_fmac_f64_e32 v[98:99], s[22:23], v[56:57]
	s_mov_b32 s53, 0x3feec746
	s_mov_b32 s52, s26
	;; [unrolled: 12-line block ×3, first 2 shown]
	v_add_f64 v[102:103], v[102:103], v[176:177]
	v_mul_f64 v[176:177], v[52:53], s[52:53]
	v_add_f64 v[106:107], v[106:107], v[180:181]
	v_mul_f64 v[180:181], v[54:55], s[34:35]
	s_mov_b32 s41, 0x3fd71e95
	s_mov_b32 s40, s44
	v_add_f64 v[104:105], v[104:105], v[178:179]
	v_add_f64 v[142:143], v[142:143], v[182:183]
	v_fma_f64 v[178:179], s[16:17], v[58:59], v[176:177]
	v_fma_f64 v[176:177], v[58:59], s[16:17], -v[176:177]
	v_fma_f64 v[182:183], v[56:57], s[10:11], -v[180:181]
	v_fmac_f64_e32 v[180:181], s[10:11], v[56:57]
	v_mul_f64 v[54:55], v[54:55], s[40:41]
	v_add_f64 v[176:177], v[176:177], v[184:185]
	v_mul_f64 v[184:185], v[52:53], s[34:35]
	v_add_f64 v[180:181], v[180:181], v[188:189]
	v_fma_f64 v[188:189], v[56:57], s[8:9], -v[54:55]
	v_mul_f64 v[52:53], v[52:53], s[40:41]
	v_fmac_f64_e32 v[54:55], s[8:9], v[56:57]
	v_add_f64 v[182:183], v[182:183], v[190:191]
	v_fma_f64 v[190:191], s[8:9], v[58:59], v[52:53]
	v_add_f64 v[0:1], v[54:55], v[0:1]
	v_fma_f64 v[52:53], v[58:59], s[8:9], -v[52:53]
	v_add_f64 v[54:55], v[46:47], v[50:51]
	v_add_f64 v[46:47], v[46:47], -v[50:51]
	v_add_f64 v[2:3], v[52:53], v[2:3]
	v_add_f64 v[52:53], v[44:45], v[48:49]
	v_add_f64 v[44:45], v[44:45], -v[48:49]
	v_mul_f64 v[48:49], v[46:47], s[54:55]
	v_fma_f64 v[50:51], v[52:53], s[10:11], -v[48:49]
	v_fmac_f64_e32 v[48:49], s[10:11], v[52:53]
	v_mul_f64 v[56:57], v[44:45], s[54:55]
	v_add_f64 v[48:49], v[48:49], v[60:61]
	v_mul_f64 v[60:61], v[46:47], s[30:31]
	v_add_f64 v[178:179], v[178:179], v[186:187]
	v_fma_f64 v[186:187], s[10:11], v[58:59], v[184:185]
	v_fma_f64 v[184:185], v[58:59], s[10:11], -v[184:185]
	v_add_f64 v[50:51], v[50:51], v[62:63]
	v_fma_f64 v[58:59], s[10:11], v[54:55], v[56:57]
	v_fma_f64 v[56:57], v[54:55], s[10:11], -v[56:57]
	v_fma_f64 v[62:63], v[52:53], s[20:21], -v[60:61]
	v_fmac_f64_e32 v[60:61], s[20:21], v[52:53]
	s_mov_b32 s59, 0x3fc7851a
	s_mov_b32 s58, s42
	v_add_f64 v[56:57], v[56:57], v[64:65]
	v_mul_f64 v[64:65], v[44:45], s[30:31]
	v_add_f64 v[60:61], v[60:61], v[68:69]
	v_mul_f64 v[68:69], v[46:47], s[58:59]
	v_add_f64 v[58:59], v[58:59], v[66:67]
	v_add_f64 v[62:63], v[62:63], v[70:71]
	v_fma_f64 v[66:67], s[20:21], v[54:55], v[64:65]
	v_fma_f64 v[64:65], v[54:55], s[20:21], -v[64:65]
	v_fma_f64 v[70:71], v[52:53], s[24:25], -v[68:69]
	v_fmac_f64_e32 v[68:69], s[24:25], v[52:53]
	v_add_f64 v[64:65], v[64:65], v[74:75]
	v_mul_f64 v[74:75], v[44:45], s[58:59]
	v_add_f64 v[68:69], v[68:69], v[78:79]
	v_mul_f64 v[78:79], v[46:47], s[52:53]
	v_add_f64 v[66:67], v[66:67], v[76:77]
	v_add_f64 v[70:71], v[70:71], v[80:81]
	v_fma_f64 v[76:77], s[24:25], v[54:55], v[74:75]
	v_fma_f64 v[74:75], v[54:55], s[24:25], -v[74:75]
	v_fma_f64 v[80:81], v[52:53], s[16:17], -v[78:79]
	v_fmac_f64_e32 v[78:79], s[16:17], v[52:53]
	s_mov_b32 s39, 0x3fe58eea
	s_mov_b32 s38, s48
	v_add_f64 v[74:75], v[74:75], v[82:83]
	v_mul_f64 v[82:83], v[44:45], s[52:53]
	v_add_f64 v[78:79], v[78:79], v[86:87]
	v_mul_f64 v[86:87], v[46:47], s[38:39]
	v_add_f64 v[76:77], v[76:77], v[84:85]
	v_add_f64 v[80:81], v[80:81], v[88:89]
	v_fma_f64 v[84:85], s[16:17], v[54:55], v[82:83]
	v_fma_f64 v[82:83], v[54:55], s[16:17], -v[82:83]
	v_fma_f64 v[88:89], v[52:53], s[14:15], -v[86:87]
	v_fmac_f64_e32 v[86:87], s[14:15], v[52:53]
	v_add_f64 v[82:83], v[82:83], v[90:91]
	v_mul_f64 v[90:91], v[44:45], s[38:39]
	v_add_f64 v[86:87], v[86:87], v[98:99]
	v_mul_f64 v[98:99], v[46:47], s[44:45]
	v_add_f64 v[84:85], v[84:85], v[96:97]
	v_add_f64 v[88:89], v[88:89], v[100:101]
	v_fma_f64 v[96:97], s[14:15], v[54:55], v[90:91]
	v_fma_f64 v[90:91], v[54:55], s[14:15], -v[90:91]
	v_fma_f64 v[100:101], v[52:53], s[8:9], -v[98:99]
	v_fmac_f64_e32 v[98:99], s[8:9], v[52:53]
	;; [unrolled: 10-line block ×3, first 2 shown]
	v_mul_f64 v[46:47], v[46:47], s[36:37]
	v_add_f64 v[102:103], v[102:103], v[176:177]
	v_mul_f64 v[176:177], v[44:45], s[46:47]
	v_add_f64 v[106:107], v[106:107], v[180:181]
	v_fma_f64 v[180:181], v[52:53], s[22:23], -v[46:47]
	v_mul_f64 v[44:45], v[44:45], s[36:37]
	v_fmac_f64_e32 v[46:47], s[22:23], v[52:53]
	v_add_f64 v[142:143], v[142:143], v[182:183]
	v_fma_f64 v[182:183], s[22:23], v[54:55], v[44:45]
	v_add_f64 v[0:1], v[46:47], v[0:1]
	v_fma_f64 v[44:45], v[54:55], s[22:23], -v[44:45]
	v_add_f64 v[46:47], v[38:39], v[42:43]
	v_add_f64 v[38:39], v[38:39], -v[42:43]
	v_add_f64 v[2:3], v[44:45], v[2:3]
	v_add_f64 v[44:45], v[36:37], v[40:41]
	v_add_f64 v[36:37], v[36:37], -v[40:41]
	v_mul_f64 v[40:41], v[38:39], s[46:47]
	v_fma_f64 v[42:43], v[44:45], s[18:19], -v[40:41]
	v_add_f64 v[42:43], v[42:43], v[50:51]
	v_mul_f64 v[50:51], v[36:37], s[46:47]
	v_fmac_f64_e32 v[40:41], s[18:19], v[44:45]
	v_fma_f64 v[52:53], s[18:19], v[46:47], v[50:51]
	v_add_f64 v[40:41], v[40:41], v[48:49]
	v_fma_f64 v[48:49], v[46:47], s[18:19], -v[50:51]
	v_mul_f64 v[50:51], v[38:39], s[42:43]
	v_add_f64 v[104:105], v[104:105], v[178:179]
	v_fma_f64 v[178:179], s[18:19], v[54:55], v[176:177]
	v_fma_f64 v[176:177], v[54:55], s[18:19], -v[176:177]
	v_fma_f64 v[54:55], v[44:45], s[24:25], -v[50:51]
	v_fmac_f64_e32 v[50:51], s[24:25], v[44:45]
	v_add_f64 v[48:49], v[48:49], v[56:57]
	v_mul_f64 v[56:57], v[36:37], s[42:43]
	v_add_f64 v[50:51], v[50:51], v[60:61]
	v_mul_f64 v[60:61], v[38:39], s[52:53]
	v_add_f64 v[52:53], v[52:53], v[58:59]
	v_add_f64 v[54:55], v[54:55], v[62:63]
	v_fma_f64 v[58:59], s[24:25], v[46:47], v[56:57]
	v_fma_f64 v[56:57], v[46:47], s[24:25], -v[56:57]
	v_fma_f64 v[62:63], v[44:45], s[16:17], -v[60:61]
	v_fmac_f64_e32 v[60:61], s[16:17], v[44:45]
	v_add_f64 v[56:57], v[56:57], v[64:65]
	v_mul_f64 v[64:65], v[36:37], s[52:53]
	v_add_f64 v[60:61], v[60:61], v[68:69]
	v_mul_f64 v[68:69], v[38:39], s[40:41]
	v_add_f64 v[58:59], v[58:59], v[66:67]
	v_add_f64 v[62:63], v[62:63], v[70:71]
	v_fma_f64 v[66:67], s[16:17], v[46:47], v[64:65]
	v_fma_f64 v[64:65], v[46:47], s[16:17], -v[64:65]
	v_fma_f64 v[70:71], v[44:45], s[8:9], -v[68:69]
	v_fmac_f64_e32 v[68:69], s[8:9], v[44:45]
	v_add_f64 v[64:65], v[64:65], v[74:75]
	v_mul_f64 v[74:75], v[36:37], s[40:41]
	v_add_f64 v[68:69], v[68:69], v[78:79]
	v_mul_f64 v[78:79], v[38:39], s[54:55]
	v_add_f64 v[66:67], v[66:67], v[76:77]
	v_add_f64 v[70:71], v[70:71], v[80:81]
	v_fma_f64 v[76:77], s[8:9], v[46:47], v[74:75]
	v_fma_f64 v[74:75], v[46:47], s[8:9], -v[74:75]
	v_fma_f64 v[80:81], v[44:45], s[10:11], -v[78:79]
	v_fmac_f64_e32 v[78:79], s[10:11], v[44:45]
	v_add_f64 v[74:75], v[74:75], v[82:83]
	v_mul_f64 v[82:83], v[36:37], s[54:55]
	v_add_f64 v[78:79], v[78:79], v[86:87]
	v_mul_f64 v[86:87], v[38:39], s[36:37]
	v_add_f64 v[76:77], v[76:77], v[84:85]
	v_add_f64 v[80:81], v[80:81], v[88:89]
	v_fma_f64 v[84:85], s[10:11], v[46:47], v[82:83]
	v_fma_f64 v[82:83], v[46:47], s[10:11], -v[82:83]
	v_fma_f64 v[88:89], v[44:45], s[22:23], -v[86:87]
	v_fmac_f64_e32 v[86:87], s[22:23], v[44:45]
	s_mov_b32 s51, 0x3fe9895b
	s_mov_b32 s50, s30
	v_add_f64 v[82:83], v[82:83], v[90:91]
	v_mul_f64 v[90:91], v[36:37], s[36:37]
	v_add_f64 v[86:87], v[86:87], v[98:99]
	v_mul_f64 v[98:99], v[38:39], s[50:51]
	v_add_f64 v[84:85], v[84:85], v[96:97]
	v_add_f64 v[88:89], v[88:89], v[100:101]
	v_fma_f64 v[96:97], s[22:23], v[46:47], v[90:91]
	v_fma_f64 v[90:91], v[46:47], s[22:23], -v[90:91]
	v_fma_f64 v[100:101], v[44:45], s[20:21], -v[98:99]
	v_fmac_f64_e32 v[98:99], s[20:21], v[44:45]
	v_mul_f64 v[38:39], v[38:39], s[38:39]
	v_add_f64 v[90:91], v[90:91], v[102:103]
	v_mul_f64 v[102:103], v[36:37], s[50:51]
	v_add_f64 v[98:99], v[98:99], v[106:107]
	v_fma_f64 v[106:107], v[44:45], s[14:15], -v[38:39]
	v_mul_f64 v[36:37], v[36:37], s[38:39]
	v_fmac_f64_e32 v[38:39], s[14:15], v[44:45]
	v_add_f64 v[100:101], v[100:101], v[142:143]
	v_fma_f64 v[142:143], s[14:15], v[46:47], v[36:37]
	v_add_f64 v[0:1], v[38:39], v[0:1]
	v_fma_f64 v[36:37], v[46:47], s[14:15], -v[36:37]
	v_add_f64 v[38:39], v[30:31], v[34:35]
	v_add_f64 v[30:31], v[30:31], -v[34:35]
	v_add_f64 v[2:3], v[36:37], v[2:3]
	v_add_f64 v[36:37], v[28:29], v[32:33]
	v_add_f64 v[28:29], v[28:29], -v[32:33]
	v_mul_f64 v[32:33], v[30:31], s[26:27]
	v_fma_f64 v[34:35], v[36:37], s[16:17], -v[32:33]
	v_add_f64 v[34:35], v[34:35], v[42:43]
	v_mul_f64 v[42:43], v[28:29], s[26:27]
	v_fmac_f64_e32 v[32:33], s[16:17], v[36:37]
	v_fma_f64 v[44:45], s[16:17], v[38:39], v[42:43]
	v_add_f64 v[32:33], v[32:33], v[40:41]
	v_fma_f64 v[40:41], v[38:39], s[16:17], -v[42:43]
	v_mul_f64 v[42:43], v[30:31], s[56:57]
	v_add_f64 v[96:97], v[96:97], v[104:105]
	v_fma_f64 v[104:105], s[20:21], v[46:47], v[102:103]
	v_fma_f64 v[102:103], v[46:47], s[20:21], -v[102:103]
	v_fma_f64 v[46:47], v[36:37], s[22:23], -v[42:43]
	v_fmac_f64_e32 v[42:43], s[22:23], v[36:37]
	v_add_f64 v[40:41], v[40:41], v[48:49]
	v_mul_f64 v[48:49], v[28:29], s[56:57]
	v_add_f64 v[42:43], v[42:43], v[50:51]
	v_mul_f64 v[50:51], v[30:31], s[38:39]
	v_add_f64 v[44:45], v[44:45], v[52:53]
	v_add_f64 v[46:47], v[46:47], v[54:55]
	v_fma_f64 v[52:53], s[22:23], v[38:39], v[48:49]
	v_fma_f64 v[48:49], v[38:39], s[22:23], -v[48:49]
	v_fma_f64 v[54:55], v[36:37], s[14:15], -v[50:51]
	v_fmac_f64_e32 v[50:51], s[14:15], v[36:37]
	v_add_f64 v[48:49], v[48:49], v[56:57]
	v_mul_f64 v[56:57], v[28:29], s[38:39]
	v_add_f64 v[50:51], v[50:51], v[60:61]
	v_mul_f64 v[60:61], v[30:31], s[54:55]
	v_add_f64 v[52:53], v[52:53], v[58:59]
	;; [unrolled: 10-line block ×3, first 2 shown]
	v_add_f64 v[62:63], v[62:63], v[70:71]
	v_fma_f64 v[66:67], s[10:11], v[38:39], v[64:65]
	v_fma_f64 v[64:65], v[38:39], s[10:11], -v[64:65]
	v_fma_f64 v[70:71], v[36:37], s[24:25], -v[68:69]
	v_fmac_f64_e32 v[68:69], s[24:25], v[36:37]
	s_mov_b32 s29, 0x3fefdd0d
	s_mov_b32 s28, s46
	v_add_f64 v[64:65], v[64:65], v[74:75]
	v_mul_f64 v[74:75], v[28:29], s[42:43]
	v_add_f64 v[68:69], v[68:69], v[78:79]
	v_mul_f64 v[78:79], v[30:31], s[28:29]
	v_add_f64 v[66:67], v[66:67], v[76:77]
	v_add_f64 v[70:71], v[70:71], v[80:81]
	v_fma_f64 v[76:77], s[24:25], v[38:39], v[74:75]
	v_fma_f64 v[74:75], v[38:39], s[24:25], -v[74:75]
	v_fma_f64 v[80:81], v[36:37], s[18:19], -v[78:79]
	v_fmac_f64_e32 v[78:79], s[18:19], v[36:37]
	v_add_f64 v[74:75], v[74:75], v[82:83]
	v_mul_f64 v[82:83], v[28:29], s[28:29]
	v_add_f64 v[78:79], v[78:79], v[86:87]
	v_mul_f64 v[86:87], v[30:31], s[44:45]
	v_add_f64 v[76:77], v[76:77], v[84:85]
	v_add_f64 v[80:81], v[80:81], v[88:89]
	v_fma_f64 v[84:85], s[18:19], v[38:39], v[82:83]
	v_fma_f64 v[82:83], v[38:39], s[18:19], -v[82:83]
	v_fma_f64 v[88:89], v[36:37], s[8:9], -v[86:87]
	v_fmac_f64_e32 v[86:87], s[8:9], v[36:37]
	v_mul_f64 v[30:31], v[30:31], s[30:31]
	v_add_f64 v[82:83], v[82:83], v[90:91]
	v_mul_f64 v[90:91], v[28:29], s[44:45]
	v_add_f64 v[86:87], v[86:87], v[98:99]
	v_fma_f64 v[98:99], v[36:37], s[20:21], -v[30:31]
	v_mul_f64 v[28:29], v[28:29], s[30:31]
	v_fmac_f64_e32 v[30:31], s[20:21], v[36:37]
	v_add_f64 v[88:89], v[88:89], v[100:101]
	v_fma_f64 v[100:101], s[20:21], v[38:39], v[28:29]
	v_add_f64 v[0:1], v[30:31], v[0:1]
	v_fma_f64 v[28:29], v[38:39], s[20:21], -v[28:29]
	v_add_f64 v[30:31], v[22:23], v[26:27]
	v_add_f64 v[22:23], v[22:23], -v[26:27]
	v_add_f64 v[2:3], v[28:29], v[2:3]
	v_add_f64 v[28:29], v[20:21], v[24:25]
	v_add_f64 v[20:21], v[20:21], -v[24:25]
	v_mul_f64 v[24:25], v[22:23], s[30:31]
	v_fma_f64 v[26:27], v[28:29], s[20:21], -v[24:25]
	v_add_f64 v[26:27], v[26:27], v[34:35]
	v_mul_f64 v[34:35], v[20:21], s[30:31]
	v_fmac_f64_e32 v[24:25], s[20:21], v[28:29]
	v_fma_f64 v[36:37], s[20:21], v[30:31], v[34:35]
	v_add_f64 v[24:25], v[24:25], v[32:33]
	v_fma_f64 v[32:33], v[30:31], s[20:21], -v[34:35]
	v_mul_f64 v[34:35], v[22:23], s[52:53]
	v_add_f64 v[84:85], v[84:85], v[96:97]
	v_fma_f64 v[96:97], s[8:9], v[38:39], v[90:91]
	v_fma_f64 v[90:91], v[38:39], s[8:9], -v[90:91]
	v_fma_f64 v[38:39], v[28:29], s[16:17], -v[34:35]
	v_fmac_f64_e32 v[34:35], s[16:17], v[28:29]
	v_add_f64 v[32:33], v[32:33], v[40:41]
	v_mul_f64 v[40:41], v[20:21], s[52:53]
	v_add_f64 v[34:35], v[34:35], v[42:43]
	v_mul_f64 v[42:43], v[22:23], s[44:45]
	v_add_f64 v[36:37], v[36:37], v[44:45]
	v_add_f64 v[38:39], v[38:39], v[46:47]
	v_fma_f64 v[44:45], s[16:17], v[30:31], v[40:41]
	v_fma_f64 v[40:41], v[30:31], s[16:17], -v[40:41]
	v_fma_f64 v[46:47], v[28:29], s[8:9], -v[42:43]
	v_fmac_f64_e32 v[42:43], s[8:9], v[28:29]
	v_add_f64 v[40:41], v[40:41], v[48:49]
	v_mul_f64 v[48:49], v[20:21], s[44:45]
	v_add_f64 v[42:43], v[42:43], v[50:51]
	v_mul_f64 v[50:51], v[22:23], s[36:37]
	v_add_f64 v[44:45], v[44:45], v[52:53]
	;; [unrolled: 10-line block ×5, first 2 shown]
	v_add_f64 v[70:71], v[70:71], v[80:81]
	v_fma_f64 v[76:77], s[14:15], v[30:31], v[74:75]
	v_fma_f64 v[74:75], v[30:31], s[14:15], -v[74:75]
	v_fma_f64 v[80:81], v[28:29], s[24:25], -v[78:79]
	v_fmac_f64_e32 v[78:79], s[24:25], v[28:29]
	v_mul_f64 v[22:23], v[22:23], s[34:35]
	v_add_f64 v[74:75], v[74:75], v[82:83]
	v_mul_f64 v[82:83], v[20:21], s[42:43]
	v_add_f64 v[78:79], v[78:79], v[86:87]
	v_fma_f64 v[86:87], v[28:29], s[10:11], -v[22:23]
	v_mul_f64 v[20:21], v[20:21], s[34:35]
	v_fmac_f64_e32 v[22:23], s[10:11], v[28:29]
	v_add_f64 v[80:81], v[80:81], v[88:89]
	v_fma_f64 v[88:89], s[10:11], v[30:31], v[20:21]
	v_add_f64 v[0:1], v[22:23], v[0:1]
	v_fma_f64 v[20:21], v[30:31], s[10:11], -v[20:21]
	v_add_f64 v[22:23], v[14:15], v[18:19]
	v_add_f64 v[14:15], v[14:15], -v[18:19]
	v_add_f64 v[2:3], v[20:21], v[2:3]
	v_add_f64 v[20:21], v[12:13], v[16:17]
	v_add_f64 v[12:13], v[12:13], -v[16:17]
	v_mul_f64 v[16:17], v[14:15], s[36:37]
	v_fma_f64 v[18:19], v[20:21], s[22:23], -v[16:17]
	v_add_f64 v[18:19], v[18:19], v[26:27]
	v_mul_f64 v[26:27], v[12:13], s[36:37]
	v_fmac_f64_e32 v[16:17], s[22:23], v[20:21]
	v_add_f64 v[24:25], v[16:17], v[24:25]
	v_fma_f64 v[16:17], v[22:23], s[22:23], -v[26:27]
	v_fma_f64 v[28:29], s[22:23], v[22:23], v[26:27]
	v_add_f64 v[26:27], v[16:17], v[32:33]
	v_mul_f64 v[16:17], v[14:15], s[34:35]
	v_add_f64 v[76:77], v[76:77], v[84:85]
	v_fma_f64 v[84:85], s[24:25], v[30:31], v[82:83]
	v_fma_f64 v[82:83], v[30:31], s[24:25], -v[82:83]
	v_fma_f64 v[30:31], v[20:21], s[10:11], -v[16:17]
	v_mul_f64 v[32:33], v[12:13], s[34:35]
	v_fmac_f64_e32 v[16:17], s[10:11], v[20:21]
	v_add_f64 v[34:35], v[16:17], v[34:35]
	v_fma_f64 v[16:17], v[22:23], s[10:11], -v[32:33]
	v_add_f64 v[28:29], v[28:29], v[36:37]
	v_fma_f64 v[36:37], s[10:11], v[22:23], v[32:33]
	v_add_f64 v[32:33], v[16:17], v[40:41]
	v_mul_f64 v[16:17], v[14:15], s[46:47]
	v_add_f64 v[30:31], v[30:31], v[38:39]
	v_fma_f64 v[38:39], v[20:21], s[18:19], -v[16:17]
	v_mul_f64 v[40:41], v[12:13], s[46:47]
	v_fmac_f64_e32 v[16:17], s[18:19], v[20:21]
	v_add_f64 v[42:43], v[16:17], v[42:43]
	v_fma_f64 v[16:17], v[22:23], s[18:19], -v[40:41]
	v_add_f64 v[36:37], v[36:37], v[44:45]
	v_fma_f64 v[44:45], s[18:19], v[22:23], v[40:41]
	v_add_f64 v[40:41], v[16:17], v[48:49]
	v_mul_f64 v[16:17], v[14:15], s[50:51]
	v_add_f64 v[38:39], v[38:39], v[46:47]
	;; [unrolled: 10-line block ×4, first 2 shown]
	v_add_f64 v[54:55], v[54:55], v[62:63]
	v_fma_f64 v[62:63], v[20:21], s[24:25], -v[16:17]
	v_mul_f64 v[64:65], v[12:13], s[42:43]
	v_fmac_f64_e32 v[16:17], s[24:25], v[20:21]
	v_add_f64 v[188:189], v[188:189], v[196:197]
	v_add_f64 v[176:177], v[176:177], v[184:185]
	;; [unrolled: 1-line block ×3, first 2 shown]
	v_fma_f64 v[16:17], v[22:23], s[24:25], -v[64:65]
	v_add_f64 v[186:187], v[186:187], v[194:195]
	v_add_f64 v[180:181], v[180:181], v[188:189]
	;; [unrolled: 1-line block ×4, first 2 shown]
	v_fma_f64 v[66:67], s[24:25], v[22:23], v[64:65]
	v_add_f64 v[64:65], v[16:17], v[74:75]
	v_mul_f64 v[16:17], v[14:15], s[38:39]
	v_add_f64 v[178:179], v[178:179], v[186:187]
	v_add_f64 v[106:107], v[106:107], v[180:181]
	v_add_f64 v[90:91], v[90:91], v[102:103]
	v_add_f64 v[62:63], v[62:63], v[70:71]
	v_fma_f64 v[70:71], v[20:21], s[14:15], -v[16:17]
	v_mul_f64 v[74:75], v[12:13], s[38:39]
	v_fmac_f64_e32 v[16:17], s[14:15], v[20:21]
	v_add_f64 v[190:191], v[190:191], v[198:199]
	v_add_f64 v[104:105], v[104:105], v[178:179]
	;; [unrolled: 1-line block ×5, first 2 shown]
	v_fma_f64 v[16:17], v[22:23], s[14:15], -v[74:75]
	v_mul_f64 v[14:15], v[14:15], s[26:27]
	v_add_f64 v[182:183], v[182:183], v[190:191]
	v_add_f64 v[96:97], v[96:97], v[104:105]
	;; [unrolled: 1-line block ×4, first 2 shown]
	v_fma_f64 v[76:77], s[14:15], v[22:23], v[74:75]
	v_add_f64 v[74:75], v[16:17], v[82:83]
	v_fma_f64 v[16:17], v[20:21], s[16:17], -v[14:15]
	v_add_f64 v[142:143], v[142:143], v[182:183]
	v_add_f64 v[84:85], v[84:85], v[96:97]
	;; [unrolled: 1-line block ×4, first 2 shown]
	v_add_f64 v[86:87], v[6:7], -v[10:11]
	v_add_f64 v[100:101], v[100:101], v[142:143]
	v_add_f64 v[76:77], v[76:77], v[84:85]
	v_mul_f64 v[12:13], v[12:13], s[26:27]
	v_fmac_f64_e32 v[14:15], s[16:17], v[20:21]
	v_add_f64 v[20:21], v[4:5], v[8:9]
	v_add_f64 v[84:85], v[4:5], -v[8:9]
	v_mul_f64 v[4:5], v[86:87], s[42:43]
	v_add_f64 v[88:89], v[88:89], v[100:101]
	v_fma_f64 v[16:17], s[16:17], v[22:23], v[12:13]
	v_fma_f64 v[12:13], v[22:23], s[16:17], -v[12:13]
	v_add_f64 v[22:23], v[6:7], v[10:11]
	v_fma_f64 v[6:7], v[20:21], s[24:25], -v[4:5]
	v_add_f64 v[82:83], v[16:17], v[88:89]
	v_add_f64 v[16:17], v[6:7], v[18:19]
	v_mul_f64 v[6:7], v[84:85], s[42:43]
	v_fma_f64 v[8:9], s[24:25], v[22:23], v[6:7]
	v_add_f64 v[18:19], v[8:9], v[28:29]
	v_mul_f64 v[8:9], v[86:87], s[40:41]
	v_fma_f64 v[10:11], v[20:21], s[8:9], -v[8:9]
	v_add_f64 v[180:181], v[10:11], v[30:31]
	v_mul_f64 v[10:11], v[84:85], s[40:41]
	v_add_f64 v[2:3], v[12:13], v[2:3]
	v_fma_f64 v[12:13], s[8:9], v[22:23], v[10:11]
	v_add_f64 v[182:183], v[12:13], v[36:37]
	v_mul_f64 v[12:13], v[86:87], s[36:37]
	v_add_f64 v[0:1], v[14:15], v[0:1]
	v_fma_f64 v[14:15], v[20:21], s[22:23], -v[12:13]
	v_fmac_f64_e32 v[4:5], s[24:25], v[20:21]
	v_add_f64 v[184:185], v[14:15], v[38:39]
	v_mul_f64 v[14:15], v[84:85], s[36:37]
	v_add_f64 v[4:5], v[4:5], v[24:25]
	v_fma_f64 v[24:25], s[22:23], v[22:23], v[14:15]
	v_fma_f64 v[6:7], v[22:23], s[24:25], -v[6:7]
	v_add_f64 v[186:187], v[24:25], v[44:45]
	v_mul_f64 v[24:25], v[86:87], s[38:39]
	v_add_f64 v[6:7], v[6:7], v[26:27]
	v_fma_f64 v[26:27], v[20:21], s[14:15], -v[24:25]
	v_add_f64 v[192:193], v[26:27], v[46:47]
	v_mul_f64 v[26:27], v[84:85], s[38:39]
	v_fmac_f64_e32 v[24:25], s[14:15], v[20:21]
	v_add_f64 v[176:177], v[24:25], v[50:51]
	v_fma_f64 v[24:25], v[22:23], s[14:15], -v[26:27]
	v_add_f64 v[178:179], v[24:25], v[48:49]
	v_mul_f64 v[24:25], v[86:87], s[30:31]
	v_fma_f64 v[28:29], s[14:15], v[22:23], v[26:27]
	v_fma_f64 v[26:27], v[20:21], s[20:21], -v[24:25]
	v_add_f64 v[200:201], v[26:27], v[54:55]
	v_mul_f64 v[26:27], v[84:85], s[30:31]
	v_fmac_f64_e32 v[24:25], s[20:21], v[20:21]
	v_add_f64 v[188:189], v[24:25], v[60:61]
	v_fma_f64 v[24:25], v[22:23], s[20:21], -v[26:27]
	v_add_f64 v[190:191], v[24:25], v[56:57]
	v_mul_f64 v[24:25], v[86:87], s[34:35]
	v_add_f64 v[194:195], v[28:29], v[52:53]
	v_fma_f64 v[28:29], s[20:21], v[22:23], v[26:27]
	v_fma_f64 v[26:27], v[20:21], s[10:11], -v[24:25]
	v_add_f64 v[204:205], v[26:27], v[62:63]
	v_mul_f64 v[26:27], v[84:85], s[34:35]
	v_fmac_f64_e32 v[24:25], s[10:11], v[20:21]
	v_add_f64 v[196:197], v[24:25], v[68:69]
	v_fma_f64 v[24:25], v[22:23], s[10:11], -v[26:27]
	v_add_f64 v[198:199], v[24:25], v[64:65]
	v_mul_f64 v[24:25], v[86:87], s[26:27]
	v_add_f64 v[202:203], v[28:29], v[58:59]
	;; [unrolled: 10-line block ×3, first 2 shown]
	v_fma_f64 v[28:29], s[16:17], v[22:23], v[26:27]
	v_fma_f64 v[26:27], v[20:21], s[18:19], -v[24:25]
	v_add_f64 v[216:217], v[26:27], v[80:81]
	v_mul_f64 v[26:27], v[84:85], s[28:29]
	v_fmac_f64_e32 v[24:25], s[18:19], v[20:21]
	v_add_f64 v[220:221], v[24:25], v[0:1]
	v_fma_f64 v[0:1], v[22:23], s[18:19], -v[26:27]
	v_fma_f64 v[14:15], v[22:23], s[22:23], -v[14:15]
	v_add_f64 v[214:215], v[28:29], v[76:77]
	v_fma_f64 v[28:29], s[18:19], v[22:23], v[26:27]
	v_add_f64 v[222:223], v[0:1], v[2:3]
	v_add_f64 v[2:3], v[110:111], -v[174:175]
	v_fmac_f64_e32 v[8:9], s[8:9], v[20:21]
	v_fma_f64 v[10:11], v[22:23], s[8:9], -v[10:11]
	v_fmac_f64_e32 v[12:13], s[22:23], v[20:21]
	v_add_f64 v[14:15], v[14:15], v[40:41]
	v_add_f64 v[218:219], v[28:29], v[82:83]
	;; [unrolled: 1-line block ×3, first 2 shown]
	v_add_f64 v[0:1], v[108:109], -v[172:173]
	v_mul_f64 v[20:21], v[2:3], s[44:45]
	v_mul_f64 v[24:25], v[2:3], s[48:49]
	;; [unrolled: 1-line block ×8, first 2 shown]
	v_add_f64 v[8:9], v[8:9], v[34:35]
	v_add_f64 v[10:11], v[10:11], v[32:33]
	;; [unrolled: 1-line block ×4, first 2 shown]
	v_mul_f64 v[22:23], v[0:1], s[44:45]
	v_mul_f64 v[26:27], v[0:1], s[48:49]
	;; [unrolled: 1-line block ×7, first 2 shown]
	v_fma_f64 v[56:57], v[30:31], s[24:25], -v[2:3]
	v_mul_f64 v[0:1], v[0:1], s[42:43]
	v_add_f64 v[66:67], v[122:123], -v[170:171]
	v_accvgpr_write_b32 a127, v21
	v_add_f64 v[60:61], v[56:57], v[112:113]
	v_fma_f64 v[56:57], s[24:25], v[32:33], v[0:1]
	v_mul_f64 v[68:69], v[66:67], s[48:49]
	v_accvgpr_write_b32 a126, v20
	v_fma_f64 v[20:21], s[8:9], v[30:31], v[20:21]
	v_accvgpr_write_b32 a129, v23
	v_add_f64 v[62:63], v[56:57], v[114:115]
	v_add_f64 v[56:57], v[168:169], v[120:121]
	v_add_f64 v[64:65], v[120:121], -v[168:169]
	v_accvgpr_write_b32 a137, v69
	v_add_f64 v[20:21], v[20:21], v[112:113]
	v_accvgpr_write_b32 a128, v22
	v_fma_f64 v[22:23], v[32:33], s[8:9], -v[22:23]
	v_add_f64 v[58:59], v[170:171], v[122:123]
	v_mul_f64 v[70:71], v[64:65], s[48:49]
	v_accvgpr_write_b32 a136, v68
	v_fma_f64 v[68:69], s[14:15], v[56:57], v[68:69]
	v_add_f64 v[22:23], v[22:23], v[114:115]
	v_add_f64 v[20:21], v[20:21], v[68:69]
	v_fma_f64 v[68:69], v[58:59], s[14:15], -v[70:71]
	v_accvgpr_write_b32 a131, v25
	v_add_f64 v[22:23], v[68:69], v[22:23]
	v_mul_f64 v[68:69], v[66:67], s[46:47]
	v_accvgpr_write_b32 a130, v24
	v_fma_f64 v[24:25], s[14:15], v[30:31], v[24:25]
	v_accvgpr_write_b32 a133, v27
	v_accvgpr_write_b32 a141, v71
	v_accvgpr_write_b32 a145, v69
	v_add_f64 v[24:25], v[24:25], v[112:113]
	v_accvgpr_write_b32 a132, v26
	v_fma_f64 v[26:27], v[32:33], s[14:15], -v[26:27]
	v_accvgpr_write_b32 a140, v70
	v_mul_f64 v[70:71], v[64:65], s[46:47]
	v_accvgpr_write_b32 a144, v68
	v_fma_f64 v[68:69], s[18:19], v[56:57], v[68:69]
	v_add_f64 v[26:27], v[26:27], v[114:115]
	v_add_f64 v[24:25], v[24:25], v[68:69]
	v_fma_f64 v[68:69], v[58:59], s[18:19], -v[70:71]
	v_accvgpr_write_b32 a135, v29
	v_add_f64 v[26:27], v[68:69], v[26:27]
	v_mul_f64 v[68:69], v[66:67], s[30:31]
	v_accvgpr_write_b32 a134, v28
	v_fma_f64 v[28:29], s[10:11], v[30:31], v[28:29]
	v_accvgpr_write_b32 a139, v35
	v_accvgpr_write_b32 a147, v71
	v_accvgpr_write_b32 a157, v69
	v_add_f64 v[28:29], v[28:29], v[112:113]
	v_accvgpr_write_b32 a138, v34
	v_fma_f64 v[34:35], v[32:33], s[10:11], -v[34:35]
	v_accvgpr_write_b32 a146, v70
	;; [unrolled: 18-line block ×5, first 2 shown]
	v_mul_f64 v[70:71], v[64:65], s[52:53]
	v_accvgpr_write_b32 a178, v68
	v_fma_f64 v[68:69], s[16:17], v[56:57], v[68:69]
	v_add_f64 v[46:47], v[46:47], v[114:115]
	v_add_f64 v[44:45], v[44:45], v[68:69]
	v_fma_f64 v[68:69], v[58:59], s[16:17], -v[70:71]
	v_fma_f64 v[50:51], v[30:31], s[22:23], -v[48:49]
	v_accvgpr_write_b32 a183, v71
	v_add_f64 v[46:47], v[68:69], v[46:47]
	v_mul_f64 v[68:69], v[66:67], s[34:35]
	v_add_f64 v[50:51], v[50:51], v[112:113]
	v_fmac_f64_e32 v[48:49], s[22:23], v[30:31]
	v_accvgpr_write_b32 a182, v70
	v_fma_f64 v[70:71], v[56:57], s[10:11], -v[68:69]
	v_fma_f64 v[54:55], s[22:23], v[32:33], v[52:53]
	v_add_f64 v[48:49], v[48:49], v[112:113]
	v_fma_f64 v[52:53], v[32:33], s[22:23], -v[52:53]
	v_add_f64 v[50:51], v[50:51], v[70:71]
	v_mul_f64 v[70:71], v[64:65], s[34:35]
	v_fmac_f64_e32 v[68:69], s[10:11], v[56:57]
	v_add_f64 v[52:53], v[52:53], v[114:115]
	v_fmac_f64_e32 v[2:3], s[24:25], v[30:31]
	v_add_f64 v[48:49], v[48:49], v[68:69]
	v_fma_f64 v[68:69], v[58:59], s[10:11], -v[70:71]
	v_mul_f64 v[66:67], v[66:67], s[40:41]
	v_add_f64 v[2:3], v[2:3], v[112:113]
	v_add_f64 v[52:53], v[68:69], v[52:53]
	v_fma_f64 v[68:69], v[56:57], s[8:9], -v[66:67]
	v_mul_f64 v[64:65], v[64:65], s[40:41]
	v_fmac_f64_e32 v[66:67], s[8:9], v[56:57]
	v_fma_f64 v[0:1], v[32:33], s[24:25], -v[0:1]
	v_add_f64 v[60:61], v[60:61], v[68:69]
	v_fma_f64 v[68:69], s[8:9], v[58:59], v[64:65]
	v_add_f64 v[2:3], v[2:3], v[66:67]
	v_add_f64 v[66:67], v[126:127], -v[166:167]
	v_add_f64 v[0:1], v[0:1], v[114:115]
	v_add_f64 v[62:63], v[68:69], v[62:63]
	v_fma_f64 v[64:65], v[58:59], s[8:9], -v[64:65]
	v_mul_f64 v[68:69], v[66:67], s[54:55]
	v_add_f64 v[0:1], v[64:65], v[0:1]
	v_add_f64 v[84:85], v[164:165], v[124:125]
	v_add_f64 v[64:65], v[124:125], -v[164:165]
	v_accvgpr_write_b32 a163, v69
	v_fma_f64 v[74:75], s[10:11], v[58:59], v[70:71]
	v_add_f64 v[86:87], v[166:167], v[126:127]
	v_mul_f64 v[70:71], v[64:65], s[54:55]
	v_accvgpr_write_b32 a162, v68
	v_fma_f64 v[68:69], s[10:11], v[84:85], v[68:69]
	v_add_f64 v[20:21], v[68:69], v[20:21]
	v_fma_f64 v[68:69], v[86:87], s[10:11], -v[70:71]
	v_add_f64 v[22:23], v[68:69], v[22:23]
	v_mul_f64 v[68:69], v[66:67], s[30:31]
	v_accvgpr_write_b32 a165, v71
	v_accvgpr_write_b32 a169, v69
	v_accvgpr_write_b32 a164, v70
	v_mul_f64 v[70:71], v[64:65], s[30:31]
	v_accvgpr_write_b32 a168, v68
	v_fma_f64 v[68:69], s[20:21], v[84:85], v[68:69]
	v_add_f64 v[24:25], v[68:69], v[24:25]
	v_fma_f64 v[68:69], v[86:87], s[20:21], -v[70:71]
	v_add_f64 v[26:27], v[68:69], v[26:27]
	v_mul_f64 v[68:69], v[66:67], s[58:59]
	v_accvgpr_write_b32 a173, v71
	v_accvgpr_write_b32 a181, v69
	v_accvgpr_write_b32 a172, v70
	;; [unrolled: 10-line block ×5, first 2 shown]
	v_mul_f64 v[70:71], v[64:65], s[44:45]
	v_accvgpr_write_b32 a202, v68
	v_fma_f64 v[68:69], s[8:9], v[84:85], v[68:69]
	v_add_f64 v[44:45], v[68:69], v[44:45]
	v_fma_f64 v[68:69], v[86:87], s[8:9], -v[70:71]
	v_accvgpr_write_b32 a207, v71
	v_add_f64 v[46:47], v[68:69], v[46:47]
	v_mul_f64 v[68:69], v[66:67], s[46:47]
	v_accvgpr_write_b32 a206, v70
	v_fma_f64 v[70:71], v[84:85], s[18:19], -v[68:69]
	v_add_f64 v[50:51], v[70:71], v[50:51]
	v_mul_f64 v[70:71], v[64:65], s[46:47]
	v_fmac_f64_e32 v[68:69], s[18:19], v[84:85]
	v_add_f64 v[48:49], v[68:69], v[48:49]
	v_fma_f64 v[68:69], v[86:87], s[18:19], -v[70:71]
	v_mul_f64 v[66:67], v[66:67], s[36:37]
	v_add_f64 v[52:53], v[68:69], v[52:53]
	v_fma_f64 v[68:69], v[84:85], s[22:23], -v[66:67]
	v_mul_f64 v[64:65], v[64:65], s[36:37]
	v_fmac_f64_e32 v[66:67], s[22:23], v[84:85]
	v_add_f64 v[60:61], v[68:69], v[60:61]
	v_fma_f64 v[68:69], s[22:23], v[86:87], v[64:65]
	v_add_f64 v[2:3], v[66:67], v[2:3]
	v_add_f64 v[66:67], v[118:119], -v[162:163]
	v_add_f64 v[62:63], v[68:69], v[62:63]
	v_fma_f64 v[64:65], v[86:87], s[22:23], -v[64:65]
	v_mul_f64 v[68:69], v[66:67], s[46:47]
	v_add_f64 v[54:55], v[54:55], v[114:115]
	v_add_f64 v[0:1], v[64:65], v[0:1]
	;; [unrolled: 1-line block ×3, first 2 shown]
	v_add_f64 v[64:65], v[116:117], -v[160:161]
	v_accvgpr_write_b32 a187, v69
	v_add_f64 v[54:55], v[74:75], v[54:55]
	v_fma_f64 v[74:75], s[18:19], v[86:87], v[70:71]
	v_add_f64 v[246:247], v[118:119], v[162:163]
	v_mul_f64 v[70:71], v[64:65], s[46:47]
	v_accvgpr_write_b32 a186, v68
	v_fma_f64 v[68:69], s[18:19], v[244:245], v[68:69]
	v_add_f64 v[20:21], v[68:69], v[20:21]
	v_fma_f64 v[68:69], v[246:247], s[18:19], -v[70:71]
	v_add_f64 v[22:23], v[68:69], v[22:23]
	v_mul_f64 v[68:69], v[66:67], s[42:43]
	v_accvgpr_write_b32 a189, v71
	v_accvgpr_write_b32 a193, v69
	v_accvgpr_write_b32 a188, v70
	v_mul_f64 v[70:71], v[64:65], s[42:43]
	v_accvgpr_write_b32 a192, v68
	v_fma_f64 v[68:69], s[24:25], v[244:245], v[68:69]
	v_add_f64 v[24:25], v[68:69], v[24:25]
	v_fma_f64 v[68:69], v[246:247], s[24:25], -v[70:71]
	v_add_f64 v[26:27], v[68:69], v[26:27]
	v_mul_f64 v[68:69], v[66:67], s[52:53]
	v_accvgpr_write_b32 a197, v71
	v_accvgpr_write_b32 a205, v69
	v_accvgpr_write_b32 a196, v70
	;; [unrolled: 10-line block ×3, first 2 shown]
	v_mul_f64 v[70:71], v[64:65], s[40:41]
	v_accvgpr_write_b32 a214, v68
	v_fma_f64 v[68:69], s[8:9], v[244:245], v[68:69]
	v_add_f64 v[36:37], v[68:69], v[36:37]
	v_fma_f64 v[68:69], v[246:247], s[8:9], -v[70:71]
	v_add_f64 v[68:69], v[68:69], v[38:39]
	v_mul_f64 v[38:39], v[66:67], s[54:55]
	v_accvgpr_write_b32 a223, v39
	v_add_f64 v[54:55], v[74:75], v[54:55]
	v_accvgpr_write_b32 a219, v71
	v_mul_f64 v[74:75], v[64:65], s[54:55]
	v_accvgpr_write_b32 a222, v38
	v_fma_f64 v[38:39], s[10:11], v[244:245], v[38:39]
	v_accvgpr_write_b32 a218, v70
	v_add_f64 v[70:71], v[38:39], v[40:41]
	v_fma_f64 v[38:39], v[246:247], s[10:11], -v[74:75]
	v_add_f64 v[42:43], v[38:39], v[42:43]
	v_mul_f64 v[38:39], v[66:67], s[36:37]
	v_accvgpr_write_b32 a227, v39
	v_mul_f64 v[40:41], v[64:65], s[36:37]
	v_accvgpr_write_b32 a226, v38
	v_fma_f64 v[38:39], s[22:23], v[244:245], v[38:39]
	v_add_f64 v[44:45], v[38:39], v[44:45]
	v_fma_f64 v[38:39], v[246:247], s[22:23], -v[40:41]
	v_accvgpr_write_b32 a231, v41
	v_add_f64 v[46:47], v[38:39], v[46:47]
	v_mul_f64 v[38:39], v[66:67], s[50:51]
	v_accvgpr_write_b32 a230, v40
	v_fma_f64 v[40:41], v[244:245], s[20:21], -v[38:39]
	v_add_f64 v[50:51], v[40:41], v[50:51]
	v_mul_f64 v[40:41], v[64:65], s[50:51]
	v_fmac_f64_e32 v[38:39], s[20:21], v[244:245]
	v_add_f64 v[48:49], v[38:39], v[48:49]
	v_fma_f64 v[38:39], v[246:247], s[20:21], -v[40:41]
	v_accvgpr_write_b32 a225, v75
	v_add_f64 v[52:53], v[38:39], v[52:53]
	v_mul_f64 v[38:39], v[66:67], s[38:39]
	v_accvgpr_write_b32 a224, v74
	v_fma_f64 v[74:75], s[20:21], v[246:247], v[40:41]
	v_fma_f64 v[40:41], v[244:245], s[14:15], -v[38:39]
	v_add_f64 v[60:61], v[40:41], v[60:61]
	v_mul_f64 v[40:41], v[64:65], s[38:39]
	v_fmac_f64_e32 v[38:39], s[14:15], v[244:245]
	v_add_f64 v[66:67], v[134:135], -v[158:159]
	v_add_f64 v[54:55], v[74:75], v[54:55]
	v_fma_f64 v[64:65], s[14:15], v[246:247], v[40:41]
	v_add_f64 v[2:3], v[38:39], v[2:3]
	v_fma_f64 v[38:39], v[246:247], s[14:15], -v[40:41]
	v_mul_f64 v[74:75], v[66:67], s[26:27]
	v_add_f64 v[62:63], v[64:65], v[62:63]
	v_add_f64 v[0:1], v[38:39], v[0:1]
	;; [unrolled: 1-line block ×3, first 2 shown]
	v_add_f64 v[64:65], v[132:133], -v[156:157]
	v_accvgpr_write_b32 a211, v75
	v_add_f64 v[40:41], v[158:159], v[134:135]
	v_mul_f64 v[76:77], v[64:65], s[26:27]
	v_accvgpr_write_b32 a210, v74
	v_fma_f64 v[74:75], s[16:17], v[38:39], v[74:75]
	v_add_f64 v[20:21], v[74:75], v[20:21]
	v_fma_f64 v[74:75], v[40:41], s[16:17], -v[76:77]
	v_add_f64 v[22:23], v[74:75], v[22:23]
	v_mul_f64 v[74:75], v[66:67], s[56:57]
	v_accvgpr_write_b32 a213, v77
	v_accvgpr_write_b32 a217, v75
	v_accvgpr_write_b32 a212, v76
	v_mul_f64 v[76:77], v[64:65], s[56:57]
	v_accvgpr_write_b32 a216, v74
	v_fma_f64 v[74:75], s[22:23], v[38:39], v[74:75]
	v_add_f64 v[24:25], v[74:75], v[24:25]
	v_fma_f64 v[74:75], v[40:41], s[22:23], -v[76:77]
	v_add_f64 v[26:27], v[74:75], v[26:27]
	v_mul_f64 v[74:75], v[66:67], s[38:39]
	v_accvgpr_write_b32 a221, v77
	v_accvgpr_write_b32 a229, v75
	v_accvgpr_write_b32 a220, v76
	v_mul_f64 v[76:77], v[64:65], s[38:39]
	v_accvgpr_write_b32 a228, v74
	v_fma_f64 v[74:75], s[14:15], v[38:39], v[74:75]
	v_add_f64 v[28:29], v[74:75], v[28:29]
	v_fma_f64 v[74:75], v[40:41], s[14:15], -v[76:77]
	v_add_f64 v[34:35], v[74:75], v[34:35]
	v_mul_f64 v[74:75], v[66:67], s[54:55]
	v_accvgpr_write_b32 a235, v77
	v_accvgpr_write_b32 a239, v75
	v_accvgpr_write_b32 a234, v76
	v_mul_f64 v[76:77], v[64:65], s[54:55]
	v_accvgpr_write_b32 a238, v74
	v_fma_f64 v[74:75], s[10:11], v[38:39], v[74:75]
	v_add_f64 v[36:37], v[74:75], v[36:37]
	v_fma_f64 v[74:75], v[40:41], s[10:11], -v[76:77]
	v_add_f64 v[68:69], v[74:75], v[68:69]
	v_mul_f64 v[74:75], v[66:67], s[42:43]
	v_accvgpr_write_b32 a243, v77
	v_accvgpr_write_b32 a247, v75
	v_accvgpr_write_b32 a242, v76
	v_mul_f64 v[76:77], v[64:65], s[42:43]
	v_accvgpr_write_b32 a246, v74
	v_fma_f64 v[74:75], s[24:25], v[38:39], v[74:75]
	v_add_f64 v[74:75], v[74:75], v[70:71]
	v_fma_f64 v[70:71], v[40:41], s[24:25], -v[76:77]
	v_add_f64 v[42:43], v[70:71], v[42:43]
	v_mul_f64 v[70:71], v[66:67], s[28:29]
	v_accvgpr_write_b32 a249, v77
	v_accvgpr_write_b32 a251, v71
	v_accvgpr_write_b32 a248, v76
	v_mul_f64 v[76:77], v[64:65], s[28:29]
	v_accvgpr_write_b32 a250, v70
	v_fma_f64 v[70:71], s[18:19], v[38:39], v[70:71]
	v_add_f64 v[44:45], v[70:71], v[44:45]
	v_fma_f64 v[70:71], v[40:41], s[18:19], -v[76:77]
	v_accvgpr_write_b32 a255, v77
	v_add_f64 v[46:47], v[70:71], v[46:47]
	v_mul_f64 v[70:71], v[66:67], s[44:45]
	v_accvgpr_write_b32 a254, v76
	v_fma_f64 v[76:77], v[38:39], s[8:9], -v[70:71]
	v_add_f64 v[50:51], v[76:77], v[50:51]
	v_mul_f64 v[76:77], v[64:65], s[44:45]
	v_fmac_f64_e32 v[70:71], s[8:9], v[38:39]
	v_add_f64 v[48:49], v[70:71], v[48:49]
	v_fma_f64 v[70:71], v[40:41], s[8:9], -v[76:77]
	v_mul_f64 v[66:67], v[66:67], s[30:31]
	v_add_f64 v[52:53], v[70:71], v[52:53]
	v_fma_f64 v[70:71], v[38:39], s[20:21], -v[66:67]
	v_fmac_f64_e32 v[66:67], s[20:21], v[38:39]
	v_fma_f64 v[78:79], s[8:9], v[40:41], v[76:77]
	v_mul_f64 v[64:65], v[64:65], s[30:31]
	v_add_f64 v[2:3], v[66:67], v[2:3]
	v_add_f64 v[66:67], v[130:131], -v[154:155]
	v_add_f64 v[54:55], v[78:79], v[54:55]
	v_add_f64 v[60:61], v[70:71], v[60:61]
	v_fma_f64 v[70:71], s[20:21], v[40:41], v[64:65]
	v_fma_f64 v[64:65], v[40:41], s[20:21], -v[64:65]
	v_mul_f64 v[78:79], v[66:67], s[30:31]
	v_add_f64 v[62:63], v[70:71], v[62:63]
	v_add_f64 v[0:1], v[64:65], v[0:1]
	;; [unrolled: 1-line block ×3, first 2 shown]
	v_add_f64 v[64:65], v[128:129], -v[152:153]
	v_accvgpr_write_b32 a233, v79
	v_add_f64 v[76:77], v[130:131], v[154:155]
	v_mul_f64 v[80:81], v[64:65], s[30:31]
	v_accvgpr_write_b32 a232, v78
	v_fma_f64 v[78:79], s[20:21], v[70:71], v[78:79]
	v_add_f64 v[20:21], v[78:79], v[20:21]
	v_fma_f64 v[78:79], v[76:77], s[20:21], -v[80:81]
	v_add_f64 v[22:23], v[78:79], v[22:23]
	v_mul_f64 v[78:79], v[66:67], s[52:53]
	v_accvgpr_write_b32 a237, v81
	v_accvgpr_write_b32 a241, v79
	;; [unrolled: 1-line block ×3, first 2 shown]
	v_mul_f64 v[80:81], v[64:65], s[52:53]
	v_accvgpr_write_b32 a240, v78
	v_fma_f64 v[78:79], s[16:17], v[70:71], v[78:79]
	v_add_f64 v[24:25], v[78:79], v[24:25]
	v_fma_f64 v[78:79], v[76:77], s[16:17], -v[80:81]
	v_add_f64 v[26:27], v[78:79], v[26:27]
	v_mul_f64 v[78:79], v[66:67], s[44:45]
	v_accvgpr_write_b32 a245, v81
	v_accvgpr_write_b32 a253, v79
	;; [unrolled: 1-line block ×3, first 2 shown]
	v_mul_f64 v[80:81], v[64:65], s[44:45]
	v_accvgpr_write_b32 a252, v78
	v_fma_f64 v[78:79], s[8:9], v[70:71], v[78:79]
	v_add_f64 v[28:29], v[78:79], v[28:29]
	v_fma_f64 v[78:79], v[76:77], s[8:9], -v[80:81]
	v_add_f64 v[34:35], v[78:79], v[34:35]
	v_mul_f64 v[78:79], v[66:67], s[36:37]
	v_accvgpr_write_b32 a0, v78
	v_mul_f64 v[232:233], v[64:65], s[36:37]
	v_accvgpr_write_b32 a1, v79
	v_fma_f64 v[78:79], s[22:23], v[70:71], v[78:79]
	v_add_f64 v[36:37], v[78:79], v[36:37]
	v_fma_f64 v[78:79], v[76:77], s[22:23], -v[232:233]
	v_mul_f64 v[240:241], v[66:67], s[28:29]
	v_add_f64 v[68:69], v[78:79], v[68:69]
	v_mul_f64 v[242:243], v[64:65], s[28:29]
	v_fma_f64 v[78:79], s[18:19], v[70:71], v[240:241]
	v_accvgpr_write_b32 a91, v81
	v_add_f64 v[78:79], v[78:79], v[74:75]
	v_fma_f64 v[74:75], v[76:77], s[18:19], -v[242:243]
	v_mul_f64 v[248:249], v[66:67], s[48:49]
	v_accvgpr_write_b32 a90, v80
	v_add_f64 v[42:43], v[74:75], v[42:43]
	v_mul_f64 v[74:75], v[64:65], s[48:49]
	v_fma_f64 v[80:81], s[14:15], v[70:71], v[248:249]
	v_add_f64 v[44:45], v[80:81], v[44:45]
	v_fma_f64 v[80:81], v[76:77], s[14:15], -v[74:75]
	v_add_f64 v[46:47], v[80:81], v[46:47]
	v_mul_f64 v[80:81], v[66:67], s[42:43]
	v_fma_f64 v[82:83], v[70:71], s[24:25], -v[80:81]
	v_add_f64 v[96:97], v[82:83], v[50:51]
	v_mul_f64 v[50:51], v[64:65], s[42:43]
	v_fmac_f64_e32 v[80:81], s[24:25], v[70:71]
	v_add_f64 v[100:101], v[80:81], v[48:49]
	v_fma_f64 v[48:49], v[76:77], s[24:25], -v[50:51]
	v_add_f64 v[102:103], v[48:49], v[52:53]
	v_mul_f64 v[48:49], v[66:67], s[34:35]
	v_fma_f64 v[82:83], s[24:25], v[76:77], v[50:51]
	v_fma_f64 v[50:51], v[70:71], s[10:11], -v[48:49]
	v_add_f64 v[60:61], v[50:51], v[60:61]
	v_mul_f64 v[50:51], v[64:65], s[34:35]
	v_fmac_f64_e32 v[48:49], s[10:11], v[70:71]
	v_add_f64 v[106:107], v[48:49], v[2:3]
	v_fma_f64 v[2:3], v[76:77], s[10:11], -v[50:51]
	v_add_f64 v[252:253], v[138:139], -v[150:151]
	v_add_f64 v[0:1], v[2:3], v[0:1]
	v_mul_f64 v[2:3], v[252:253], s[36:37]
	v_add_f64 v[236:237], v[136:137], v[148:149]
	v_add_f64 v[142:143], v[136:137], -v[148:149]
	v_accvgpr_write_b32 a31, v3
	v_add_f64 v[238:239], v[138:139], v[150:151]
	v_mul_f64 v[48:49], v[142:143], s[36:37]
	v_accvgpr_write_b32 a30, v2
	v_fma_f64 v[2:3], s[22:23], v[236:237], v[2:3]
	v_add_f64 v[90:91], v[2:3], v[20:21]
	v_fma_f64 v[2:3], v[238:239], s[22:23], -v[48:49]
	v_add_f64 v[224:225], v[2:3], v[22:23]
	v_mul_f64 v[2:3], v[252:253], s[34:35]
	v_accvgpr_write_b32 a33, v3
	v_mul_f64 v[234:235], v[142:143], s[34:35]
	v_accvgpr_write_b32 a32, v2
	v_fma_f64 v[2:3], s[10:11], v[236:237], v[2:3]
	v_fma_f64 v[52:53], s[10:11], v[76:77], v[50:51]
	v_accvgpr_write_b32 a77, v49
	v_add_f64 v[50:51], v[2:3], v[24:25]
	v_fma_f64 v[2:3], v[238:239], s[10:11], -v[234:235]
	v_mul_f64 v[250:251], v[252:253], s[46:47]
	v_accvgpr_write_b32 a76, v48
	v_add_f64 v[48:49], v[2:3], v[26:27]
	v_mul_f64 v[20:21], v[142:143], s[46:47]
	v_fma_f64 v[2:3], s[18:19], v[236:237], v[250:251]
	v_add_f64 v[98:99], v[82:83], v[54:55]
	v_add_f64 v[54:55], v[2:3], v[28:29]
	v_fma_f64 v[2:3], v[238:239], s[18:19], -v[20:21]
	v_mul_f64 v[22:23], v[252:253], s[50:51]
	v_add_f64 v[104:105], v[52:53], v[62:63]
	v_add_f64 v[52:53], v[2:3], v[34:35]
	v_mul_f64 v[24:25], v[142:143], s[50:51]
	v_fma_f64 v[2:3], s[20:21], v[236:237], v[22:23]
	v_add_f64 v[80:81], v[2:3], v[36:37]
	v_fma_f64 v[2:3], v[238:239], s[20:21], -v[24:25]
	v_mul_f64 v[34:35], v[252:253], s[44:45]
	v_add_f64 v[66:67], v[2:3], v[68:69]
	v_mul_f64 v[36:37], v[142:143], s[44:45]
	v_fma_f64 v[2:3], s[8:9], v[236:237], v[34:35]
	v_add_f64 v[88:89], v[2:3], v[78:79]
	v_fma_f64 v[2:3], v[238:239], s[8:9], -v[36:37]
	v_add_f64 v[82:83], v[2:3], v[42:43]
	v_mul_f64 v[42:43], v[252:253], s[42:43]
	v_mul_f64 v[2:3], v[142:143], s[42:43]
	v_fma_f64 v[26:27], s[24:25], v[236:237], v[42:43]
	v_add_f64 v[78:79], v[26:27], v[44:45]
	v_fma_f64 v[26:27], v[238:239], s[24:25], -v[2:3]
	v_add_f64 v[68:69], v[26:27], v[46:47]
	v_mul_f64 v[26:27], v[252:253], s[38:39]
	v_fma_f64 v[28:29], v[236:237], s[14:15], -v[26:27]
	v_add_f64 v[62:63], v[28:29], v[96:97]
	v_mul_f64 v[28:29], v[142:143], s[38:39]
	v_fmac_f64_e32 v[26:27], s[14:15], v[236:237]
	v_fma_f64 v[44:45], s[14:15], v[238:239], v[28:29]
	v_add_f64 v[96:97], v[26:27], v[100:101]
	v_fma_f64 v[26:27], v[238:239], s[14:15], -v[28:29]
	v_add_f64 v[64:65], v[44:45], v[98:99]
	v_add_f64 v[98:99], v[26:27], v[102:103]
	v_mul_f64 v[26:27], v[252:253], s[26:27]
	v_fma_f64 v[28:29], v[236:237], s[16:17], -v[26:27]
	v_add_f64 v[100:101], v[28:29], v[60:61]
	v_mul_f64 v[28:29], v[142:143], s[26:27]
	v_fma_f64 v[44:45], s[16:17], v[238:239], v[28:29]
	v_fmac_f64_e32 v[26:27], s[16:17], v[236:237]
	v_add_f64 v[102:103], v[44:45], v[104:105]
	v_add_f64 v[104:105], v[26:27], v[106:107]
	v_fma_f64 v[26:27], v[238:239], s[16:17], -v[28:29]
	v_add_f64 v[60:61], v[94:95], -v[146:147]
	v_add_f64 v[106:107], v[26:27], v[0:1]
	v_add_f64 v[26:27], v[92:93], v[144:145]
	v_add_f64 v[0:1], v[92:93], -v[144:145]
	v_mul_f64 v[252:253], v[60:61], s[42:43]
	v_add_f64 v[28:29], v[94:95], v[146:147]
	v_mul_f64 v[254:255], v[0:1], s[42:43]
	v_fma_f64 v[44:45], s[24:25], v[26:27], v[252:253]
	v_add_f64 v[228:229], v[44:45], v[90:91]
	v_fma_f64 v[44:45], v[28:29], s[24:25], -v[254:255]
	v_add_f64 v[230:231], v[44:45], v[224:225]
	v_mul_f64 v[44:45], v[60:61], s[40:41]
	v_accvgpr_write_b32 a78, v228
	v_mul_f64 v[46:47], v[0:1], s[40:41]
	v_fma_f64 v[90:91], s[8:9], v[26:27], v[44:45]
	v_accvgpr_write_b32 a79, v229
	v_accvgpr_write_b32 a80, v230
	v_accvgpr_write_b32 a81, v231
	v_add_f64 v[228:229], v[90:91], v[50:51]
	v_fma_f64 v[50:51], v[28:29], s[8:9], -v[46:47]
	v_add_f64 v[230:231], v[50:51], v[48:49]
	v_mul_f64 v[48:49], v[60:61], s[36:37]
	v_accvgpr_write_b32 a82, v228
	v_mul_f64 v[50:51], v[0:1], s[36:37]
	v_fma_f64 v[90:91], s[22:23], v[26:27], v[48:49]
	v_accvgpr_write_b32 a83, v229
	v_accvgpr_write_b32 a84, v230
	v_accvgpr_write_b32 a85, v231
	;; [unrolled: 10-line block ×5, first 2 shown]
	v_add_f64 v[228:229], v[90:91], v[78:79]
	v_fma_f64 v[78:79], v[28:29], s[10:11], -v[88:89]
	v_add_f64 v[230:231], v[78:79], v[68:69]
	v_mul_f64 v[68:69], v[60:61], s[26:27]
	v_accvgpr_write_b32 a100, v228
	v_fma_f64 v[78:79], v[26:27], s[16:17], -v[68:69]
	v_accvgpr_write_b32 a101, v229
	v_accvgpr_write_b32 a102, v230
	;; [unrolled: 1-line block ×3, first 2 shown]
	v_add_f64 v[228:229], v[78:79], v[62:63]
	v_mul_f64 v[62:63], v[0:1], s[26:27]
	v_fma_f64 v[78:79], s[16:17], v[28:29], v[62:63]
	v_fma_f64 v[62:63], v[28:29], s[16:17], -v[62:63]
	v_fmac_f64_e32 v[68:69], s[16:17], v[26:27]
	v_add_f64 v[98:99], v[62:63], v[98:99]
	v_mul_f64 v[60:61], v[60:61], s[28:29]
	v_add_f64 v[96:97], v[68:69], v[96:97]
	v_accvgpr_write_b32 a111, v99
	v_fma_f64 v[62:63], v[26:27], s[18:19], -v[60:61]
	v_mul_f64 v[0:1], v[0:1], s[28:29]
	v_accvgpr_write_b32 a110, v98
	v_accvgpr_write_b32 a109, v97
	;; [unrolled: 1-line block ×3, first 2 shown]
	v_add_f64 v[96:97], v[62:63], v[100:101]
	v_fma_f64 v[62:63], s[18:19], v[28:29], v[0:1]
	v_add_f64 v[98:99], v[62:63], v[102:103]
	v_fma_f64 v[0:1], v[28:29], s[18:19], -v[0:1]
	v_accvgpr_write_b32 a115, v99
	v_fmac_f64_e32 v[60:61], s[18:19], v[26:27]
	v_add_f64 v[62:63], v[0:1], v[106:107]
	v_mul_lo_u16_e32 v0, 17, v226
	v_accvgpr_read_b32 v224, a3
	v_add_f64 v[230:231], v[78:79], v[64:65]
	v_accvgpr_write_b32 a104, v228
	v_accvgpr_write_b32 a114, v98
	;; [unrolled: 1-line block ×4, first 2 shown]
	v_add_f64 v[60:61], v[60:61], v[104:105]
	v_accvgpr_write_b32 a119, v63
	v_lshl_add_u32 v96, v0, 4, v224
	v_accvgpr_read_b32 v0, a120
	v_accvgpr_write_b32 a105, v229
	v_accvgpr_write_b32 a106, v230
	;; [unrolled: 1-line block ×6, first 2 shown]
	s_waitcnt lgkmcnt(0)
	; wave barrier
	v_accvgpr_write_b32 a2, v226
	ds_write_b128 v96, a[122:125]
	ds_write_b128 v96, v[16:19] offset:16
	ds_write_b128 v96, v[180:183] offset:32
	;; [unrolled: 1-line block ×16, first 2 shown]
	v_mul_u32_u24_e32 v177, 17, v0
	s_and_saveexec_b64 s[26:27], vcc
	s_cbranch_execz .LBB0_7
; %bb.6:
	v_accvgpr_read_b32 v8, a254
	v_mul_f64 v[6:7], v[40:41], s[18:19]
	v_accvgpr_read_b32 v9, a255
	v_accvgpr_read_b32 v10, a230
	v_add_f64 v[6:7], v[8:9], v[6:7]
	v_mul_f64 v[8:9], v[246:247], s[22:23]
	v_accvgpr_read_b32 v11, a231
	v_accvgpr_read_b32 v12, a206
	v_add_f64 v[8:9], v[10:11], v[8:9]
	;; [unrolled: 4-line block ×4, first 2 shown]
	v_mul_f64 v[14:15], v[32:33], s[20:21]
	v_accvgpr_read_b32 v17, a159
	v_add_f64 v[14:15], v[16:17], v[14:15]
	v_add_f64 v[14:15], v[14:15], v[114:115]
	v_add_f64 v[12:13], v[12:13], v[14:15]
	v_mul_f64 v[4:5], v[238:239], s[24:25]
	v_add_f64 v[10:11], v[10:11], v[12:13]
	v_accvgpr_read_b32 v12, a250
	v_add_f64 v[2:3], v[2:3], v[4:5]
	v_mul_f64 v[4:5], v[76:77], s[14:15]
	v_add_f64 v[8:9], v[8:9], v[10:11]
	v_mul_f64 v[10:11], v[38:39], s[18:19]
	v_accvgpr_read_b32 v13, a251
	v_accvgpr_read_b32 v14, a226
	v_add_f64 v[4:5], v[74:75], v[4:5]
	v_add_f64 v[6:7], v[6:7], v[8:9]
	v_add_f64 v[10:11], v[10:11], -v[12:13]
	v_mul_f64 v[12:13], v[244:245], s[22:23]
	v_accvgpr_read_b32 v15, a227
	v_accvgpr_read_b32 v16, a202
	v_add_f64 v[4:5], v[4:5], v[6:7]
	v_mul_f64 v[6:7], v[236:237], s[24:25]
	v_add_f64 v[12:13], v[12:13], -v[14:15]
	v_mul_f64 v[14:15], v[84:85], s[8:9]
	v_accvgpr_read_b32 v17, a203
	v_accvgpr_read_b32 v18, a178
	v_add_f64 v[6:7], v[6:7], -v[42:43]
	v_add_f64 v[14:15], v[14:15], -v[16:17]
	v_mul_f64 v[16:17], v[56:57], s[16:17]
	v_accvgpr_read_b32 v19, a179
	v_accvgpr_read_b32 v42, a154
	v_add_f64 v[16:17], v[16:17], -v[18:19]
	v_mul_f64 v[18:19], v[30:31], s[20:21]
	v_accvgpr_read_b32 v43, a155
	v_add_f64 v[18:19], v[18:19], -v[42:43]
	v_add_f64 v[18:19], v[18:19], v[112:113]
	v_add_f64 v[16:17], v[18:19], v[16:17]
	;; [unrolled: 1-line block ×3, first 2 shown]
	v_mul_f64 v[8:9], v[70:71], s[14:15]
	v_add_f64 v[12:13], v[12:13], v[14:15]
	v_add_f64 v[8:9], v[8:9], -v[248:249]
	v_add_f64 v[10:11], v[10:11], v[12:13]
	v_accvgpr_read_b32 v12, a248
	v_mul_f64 v[0:1], v[28:29], s[10:11]
	v_add_f64 v[2:3], v[2:3], v[4:5]
	v_mul_f64 v[4:5], v[26:27], s[10:11]
	v_add_f64 v[8:9], v[8:9], v[10:11]
	v_mul_f64 v[10:11], v[40:41], s[24:25]
	v_accvgpr_read_b32 v13, a249
	v_accvgpr_read_b32 v14, a224
	v_add_f64 v[0:1], v[88:89], v[0:1]
	v_add_f64 v[4:5], v[4:5], -v[82:83]
	v_add_f64 v[6:7], v[6:7], v[8:9]
	v_add_f64 v[10:11], v[12:13], v[10:11]
	v_mul_f64 v[12:13], v[246:247], s[10:11]
	v_accvgpr_read_b32 v15, a225
	v_accvgpr_read_b32 v16, a200
	v_add_f64 v[2:3], v[0:1], v[2:3]
	v_add_f64 v[0:1], v[4:5], v[6:7]
	v_mul_f64 v[6:7], v[238:239], s[8:9]
	v_add_f64 v[12:13], v[14:15], v[12:13]
	v_mul_f64 v[14:15], v[86:87], s[14:15]
	v_accvgpr_read_b32 v17, a201
	v_accvgpr_read_b32 v18, a176
	v_add_f64 v[6:7], v[36:37], v[6:7]
	v_add_f64 v[14:15], v[16:17], v[14:15]
	v_mul_f64 v[16:17], v[58:59], s[22:23]
	v_accvgpr_read_b32 v19, a177
	v_accvgpr_read_b32 v36, a152
	v_add_f64 v[16:17], v[18:19], v[16:17]
	v_mul_f64 v[18:19], v[32:33], s[16:17]
	v_accvgpr_read_b32 v37, a153
	v_add_f64 v[18:19], v[36:37], v[18:19]
	v_add_f64 v[18:19], v[18:19], v[114:115]
	;; [unrolled: 1-line block ×4, first 2 shown]
	v_mul_f64 v[8:9], v[76:77], s[18:19]
	v_add_f64 v[12:13], v[12:13], v[14:15]
	v_add_f64 v[8:9], v[242:243], v[8:9]
	v_add_f64 v[10:11], v[10:11], v[12:13]
	v_accvgpr_read_b32 v16, a246
	v_add_f64 v[8:9], v[8:9], v[10:11]
	v_mul_f64 v[10:11], v[236:237], s[8:9]
	v_mul_f64 v[14:15], v[38:39], s[24:25]
	v_accvgpr_read_b32 v17, a247
	v_accvgpr_read_b32 v18, a222
	v_add_f64 v[10:11], v[10:11], -v[34:35]
	v_add_f64 v[14:15], v[14:15], -v[16:17]
	v_mul_f64 v[16:17], v[244:245], s[10:11]
	v_accvgpr_read_b32 v19, a223
	v_accvgpr_read_b32 v34, a198
	v_add_f64 v[16:17], v[16:17], -v[18:19]
	v_mul_f64 v[18:19], v[84:85], s[14:15]
	v_accvgpr_read_b32 v35, a199
	v_accvgpr_read_b32 v36, a174
	;; [unrolled: 4-line block ×3, first 2 shown]
	v_add_f64 v[34:35], v[34:35], -v[36:37]
	v_mul_f64 v[36:37], v[30:31], s[16:17]
	v_accvgpr_read_b32 v43, a151
	v_add_f64 v[36:37], v[36:37], -v[42:43]
	v_add_f64 v[36:37], v[36:37], v[112:113]
	v_add_f64 v[34:35], v[36:37], v[34:35]
	;; [unrolled: 1-line block ×3, first 2 shown]
	v_mul_f64 v[12:13], v[70:71], s[18:19]
	v_add_f64 v[16:17], v[16:17], v[18:19]
	v_add_f64 v[12:13], v[12:13], -v[240:241]
	v_add_f64 v[14:15], v[14:15], v[16:17]
	v_mul_f64 v[4:5], v[28:29], s[20:21]
	v_add_f64 v[6:7], v[6:7], v[8:9]
	v_mul_f64 v[8:9], v[26:27], s[20:21]
	v_add_f64 v[12:13], v[12:13], v[14:15]
	v_add_f64 v[4:5], v[80:81], v[4:5]
	v_add_f64 v[8:9], v[8:9], -v[66:67]
	v_add_f64 v[10:11], v[10:11], v[12:13]
	v_accvgpr_read_b32 v16, a242
	v_add_f64 v[6:7], v[4:5], v[6:7]
	v_add_f64 v[4:5], v[8:9], v[10:11]
	v_mul_f64 v[10:11], v[238:239], s[20:21]
	v_mul_f64 v[14:15], v[40:41], s[10:11]
	v_accvgpr_read_b32 v17, a243
	v_accvgpr_read_b32 v18, a218
	v_add_f64 v[10:11], v[24:25], v[10:11]
	v_add_f64 v[14:15], v[16:17], v[14:15]
	v_mul_f64 v[16:17], v[246:247], s[8:9]
	v_accvgpr_read_b32 v19, a219
	v_accvgpr_read_b32 v24, a194
	v_add_f64 v[16:17], v[18:19], v[16:17]
	v_mul_f64 v[18:19], v[86:87], s[16:17]
	v_accvgpr_read_b32 v25, a195
	v_accvgpr_read_b32 v34, a170
	;; [unrolled: 4-line block ×3, first 2 shown]
	v_add_f64 v[24:25], v[34:35], v[24:25]
	v_mul_f64 v[34:35], v[32:33], s[18:19]
	v_accvgpr_read_b32 v37, a149
	v_add_f64 v[34:35], v[36:37], v[34:35]
	v_add_f64 v[34:35], v[34:35], v[114:115]
	;; [unrolled: 1-line block ×4, first 2 shown]
	v_mul_f64 v[12:13], v[76:77], s[22:23]
	v_add_f64 v[16:17], v[16:17], v[18:19]
	v_add_f64 v[12:13], v[232:233], v[12:13]
	;; [unrolled: 1-line block ×4, first 2 shown]
	v_mul_f64 v[14:15], v[236:237], s[20:21]
	v_accvgpr_read_b32 v19, a1
	v_add_f64 v[14:15], v[14:15], -v[22:23]
	v_mul_f64 v[16:17], v[70:71], s[22:23]
	v_accvgpr_read_b32 v18, a0
	v_accvgpr_read_b32 v22, a238
	v_add_f64 v[16:17], v[16:17], -v[18:19]
	v_mul_f64 v[18:19], v[38:39], s[10:11]
	v_accvgpr_read_b32 v23, a239
	;; [unrolled: 4-line block ×6, first 2 shown]
	v_add_f64 v[36:37], v[36:37], -v[42:43]
	v_add_f64 v[36:37], v[36:37], v[112:113]
	v_add_f64 v[34:35], v[36:37], v[34:35]
	;; [unrolled: 1-line block ×5, first 2 shown]
	v_mul_f64 v[8:9], v[28:29], s[14:15]
	v_add_f64 v[10:11], v[10:11], v[12:13]
	v_mul_f64 v[12:13], v[26:27], s[14:15]
	v_add_f64 v[16:17], v[16:17], v[18:19]
	v_add_f64 v[8:9], v[54:55], v[8:9]
	v_add_f64 v[12:13], v[12:13], -v[52:53]
	v_add_f64 v[14:15], v[14:15], v[16:17]
	v_add_f64 v[10:11], v[8:9], v[10:11]
	;; [unrolled: 1-line block ×3, first 2 shown]
	v_mul_f64 v[14:15], v[238:239], s[18:19]
	v_accvgpr_read_b32 v18, a90
	v_add_f64 v[14:15], v[20:21], v[14:15]
	v_mul_f64 v[16:17], v[76:77], s[8:9]
	v_accvgpr_read_b32 v19, a91
	v_accvgpr_read_b32 v20, a234
	v_add_f64 v[16:17], v[18:19], v[16:17]
	v_mul_f64 v[18:19], v[40:41], s[14:15]
	v_accvgpr_read_b32 v21, a235
	v_accvgpr_read_b32 v22, a208
	v_add_f64 v[18:19], v[20:21], v[18:19]
	v_mul_f64 v[20:21], v[246:247], s[16:17]
	v_accvgpr_read_b32 v23, a209
	v_accvgpr_read_b32 v24, a184
	v_add_f64 v[20:21], v[22:23], v[20:21]
	v_mul_f64 v[22:23], v[86:87], s[24:25]
	v_accvgpr_read_b32 v25, a185
	v_accvgpr_read_b32 v34, a160
	v_add_f64 v[22:23], v[24:25], v[22:23]
	v_mul_f64 v[24:25], v[58:59], s[20:21]
	v_accvgpr_read_b32 v35, a161
	v_accvgpr_read_b32 v36, a138
	v_add_f64 v[24:25], v[34:35], v[24:25]
	v_mul_f64 v[34:35], v[32:33], s[10:11]
	v_accvgpr_read_b32 v37, a139
	v_add_f64 v[34:35], v[36:37], v[34:35]
	v_add_f64 v[34:35], v[34:35], v[114:115]
	;; [unrolled: 1-line block ×4, first 2 shown]
	v_mul_f64 v[12:13], v[28:29], s[22:23]
	v_add_f64 v[20:21], v[20:21], v[22:23]
	v_accvgpr_read_b32 v54, a252
	v_add_f64 v[12:13], v[50:51], v[12:13]
	v_mul_f64 v[42:43], v[56:57], s[14:15]
	v_add_f64 v[18:19], v[18:19], v[20:21]
	v_mul_f64 v[22:23], v[56:57], s[18:19]
	v_mul_f64 v[50:51], v[56:57], s[20:21]
	;; [unrolled: 1-line block ×3, first 2 shown]
	v_accvgpr_read_b32 v55, a253
	v_accvgpr_read_b32 v56, a228
	;; [unrolled: 1-line block ×3, first 2 shown]
	v_mul_f64 v[36:37], v[30:31], s[8:9]
	v_mul_f64 v[24:25], v[30:31], s[14:15]
	;; [unrolled: 1-line block ×4, first 2 shown]
	v_add_f64 v[16:17], v[16:17], v[18:19]
	v_mul_f64 v[18:19], v[58:59], s[18:19]
	v_add_f64 v[52:53], v[52:53], -v[54:55]
	v_mul_f64 v[54:55], v[38:39], s[14:15]
	v_accvgpr_read_b32 v57, a229
	v_accvgpr_read_b32 v58, a204
	;; [unrolled: 1-line block ×4, first 2 shown]
	v_add_f64 v[54:55], v[54:55], -v[56:57]
	v_mul_f64 v[56:57], v[244:245], s[16:17]
	v_accvgpr_read_b32 v59, a205
	v_accvgpr_read_b32 v60, a180
	v_accvgpr_read_b32 v63, a157
	v_add_f64 v[30:31], v[30:31], -v[68:69]
	v_add_f64 v[56:57], v[56:57], -v[58:59]
	v_mul_f64 v[58:59], v[84:85], s[24:25]
	v_accvgpr_read_b32 v61, a181
	v_add_f64 v[50:51], v[50:51], -v[62:63]
	v_add_f64 v[30:31], v[30:31], v[112:113]
	v_add_f64 v[58:59], v[58:59], -v[60:61]
	v_add_f64 v[30:31], v[30:31], v[50:51]
	v_add_f64 v[30:31], v[58:59], v[30:31]
	v_add_f64 v[30:31], v[56:57], v[30:31]
	v_mul_f64 v[60:61], v[84:85], s[10:11]
	v_mul_f64 v[64:65], v[84:85], s[20:21]
	v_add_f64 v[30:31], v[54:55], v[30:31]
	v_accvgpr_read_b32 v84, a244
	v_add_f64 v[30:31], v[52:53], v[30:31]
	v_mul_f64 v[52:53], v[76:77], s[20:21]
	v_mul_f64 v[76:77], v[76:77], s[16:17]
	v_accvgpr_read_b32 v85, a245
	v_add_f64 v[76:77], v[84:85], v[76:77]
	v_accvgpr_read_b32 v84, a220
	v_mul_f64 v[56:57], v[40:41], s[16:17]
	v_mul_f64 v[40:41], v[40:41], s[22:23]
	v_accvgpr_read_b32 v85, a221
	v_add_f64 v[40:41], v[84:85], v[40:41]
	v_accvgpr_read_b32 v84, a196
	v_mul_f64 v[78:79], v[246:247], s[24:25]
	v_accvgpr_read_b32 v85, a197
	v_add_f64 v[78:79], v[84:85], v[78:79]
	v_accvgpr_read_b32 v84, a172
	;; [unrolled: 4-line block ×3, first 2 shown]
	v_accvgpr_read_b32 v85, a147
	v_add_f64 v[18:19], v[84:85], v[18:19]
	v_accvgpr_read_b32 v84, a132
	v_mul_f64 v[34:35], v[32:33], s[8:9]
	v_mul_f64 v[32:33], v[32:33], s[14:15]
	v_accvgpr_read_b32 v85, a133
	v_add_f64 v[32:33], v[84:85], v[32:33]
	v_add_f64 v[32:33], v[32:33], v[114:115]
	;; [unrolled: 1-line block ×5, first 2 shown]
	v_mul_f64 v[80:81], v[238:239], s[10:11]
	v_add_f64 v[18:19], v[40:41], v[18:19]
	v_mul_f64 v[82:83], v[28:29], s[8:9]
	v_add_f64 v[80:81], v[234:235], v[80:81]
	v_add_f64 v[18:19], v[76:77], v[18:19]
	v_add_f64 v[46:47], v[46:47], v[82:83]
	v_add_f64 v[18:19], v[80:81], v[18:19]
	v_add_f64 v[18:19], v[46:47], v[18:19]
	v_accvgpr_read_b32 v46, a144
	v_accvgpr_read_b32 v47, a145
	v_add_f64 v[22:23], v[22:23], -v[46:47]
	v_accvgpr_read_b32 v46, a130
	v_add_f64 v[14:15], v[14:15], v[16:17]
	v_mul_f64 v[16:17], v[26:27], s[22:23]
	v_mul_f64 v[82:83], v[26:27], s[24:25]
	v_mul_f64 v[26:27], v[26:27], s[8:9]
	v_accvgpr_read_b32 v40, a216
	v_accvgpr_read_b32 v47, a131
	v_mul_f64 v[58:59], v[38:39], s[16:17]
	v_mul_f64 v[38:39], v[38:39], s[22:23]
	v_add_f64 v[26:27], v[26:27], -v[44:45]
	v_accvgpr_read_b32 v41, a217
	v_accvgpr_read_b32 v44, a168
	v_add_f64 v[24:25], v[24:25], -v[46:47]
	v_add_f64 v[38:39], v[38:39], -v[40:41]
	v_accvgpr_read_b32 v40, a192
	v_accvgpr_read_b32 v45, a169
	v_add_f64 v[24:25], v[24:25], v[112:113]
	v_add_f64 v[16:17], v[16:17], -v[48:49]
	v_mul_f64 v[48:49], v[236:237], s[18:19]
	v_mul_f64 v[74:75], v[244:245], s[24:25]
	v_accvgpr_read_b32 v41, a193
	v_add_f64 v[44:45], v[64:65], -v[44:45]
	v_add_f64 v[22:23], v[24:25], v[22:23]
	v_add_f64 v[48:49], v[48:49], -v[250:251]
	v_add_f64 v[40:41], v[74:75], -v[40:41]
	v_add_f64 v[22:23], v[44:45], v[22:23]
	v_add_f64 v[30:31], v[48:49], v[30:31]
	v_accvgpr_read_b32 v32, a32
	v_add_f64 v[22:23], v[40:41], v[22:23]
	v_add_f64 v[14:15], v[12:13], v[14:15]
	v_add_f64 v[12:13], v[16:17], v[30:31]
	v_mul_f64 v[16:17], v[236:237], s[10:11]
	v_accvgpr_read_b32 v33, a33
	v_add_f64 v[22:23], v[38:39], v[22:23]
	v_accvgpr_read_b32 v38, a140
	v_add_f64 v[16:17], v[16:17], -v[32:33]
	v_accvgpr_read_b32 v32, a240
	v_accvgpr_read_b32 v39, a141
	v_mul_f64 v[54:55], v[70:71], s[20:21]
	v_mul_f64 v[70:71], v[70:71], s[16:17]
	v_accvgpr_read_b32 v33, a241
	v_add_f64 v[20:21], v[38:39], v[20:21]
	v_accvgpr_read_b32 v38, a128
	v_add_f64 v[32:33], v[70:71], -v[32:33]
	v_accvgpr_read_b32 v24, a76
	v_accvgpr_read_b32 v39, a129
	v_mul_f64 v[30:31], v[238:239], s[22:23]
	v_add_f64 v[22:23], v[32:33], v[22:23]
	v_accvgpr_read_b32 v25, a77
	v_accvgpr_read_b32 v32, a164
	v_add_f64 v[34:35], v[38:39], v[34:35]
	v_mul_f64 v[62:63], v[86:87], s[10:11]
	v_mul_f64 v[28:29], v[28:29], s[24:25]
	v_add_f64 v[24:25], v[24:25], v[30:31]
	v_accvgpr_read_b32 v30, a188
	v_accvgpr_read_b32 v33, a165
	v_add_f64 v[34:35], v[34:35], v[114:115]
	v_accvgpr_read_b32 v38, a126
	v_mul_f64 v[50:51], v[246:247], s[18:19]
	v_add_f64 v[16:17], v[16:17], v[22:23]
	v_add_f64 v[22:23], v[254:255], v[28:29]
	v_accvgpr_read_b32 v28, a212
	v_accvgpr_read_b32 v31, a189
	v_add_f64 v[32:33], v[32:33], v[62:63]
	v_add_f64 v[20:21], v[20:21], v[34:35]
	v_accvgpr_read_b32 v34, a136
	v_accvgpr_read_b32 v39, a127
	v_add_f64 v[16:17], v[26:27], v[16:17]
	v_accvgpr_read_b32 v26, a236
	v_accvgpr_read_b32 v29, a213
	v_add_f64 v[30:31], v[30:31], v[50:51]
	v_add_f64 v[20:21], v[32:33], v[20:21]
	v_accvgpr_read_b32 v32, a162
	v_accvgpr_read_b32 v35, a137
	v_add_f64 v[36:37], v[36:37], -v[38:39]
	v_accvgpr_read_b32 v27, a237
	v_add_f64 v[28:29], v[28:29], v[56:57]
	v_add_f64 v[20:21], v[30:31], v[20:21]
	v_accvgpr_read_b32 v30, a186
	v_accvgpr_read_b32 v33, a163
	v_add_f64 v[34:35], v[42:43], -v[34:35]
	v_add_f64 v[36:37], v[36:37], v[112:113]
	v_mul_f64 v[68:69], v[244:245], s[18:19]
	v_add_f64 v[26:27], v[26:27], v[52:53]
	v_add_f64 v[20:21], v[28:29], v[20:21]
	v_accvgpr_read_b32 v28, a210
	v_accvgpr_read_b32 v31, a187
	v_add_f64 v[32:33], v[60:61], -v[32:33]
	v_add_f64 v[34:35], v[36:37], v[34:35]
	v_add_f64 v[20:21], v[26:27], v[20:21]
	v_accvgpr_read_b32 v26, a232
	v_accvgpr_read_b32 v29, a211
	v_add_f64 v[30:31], v[68:69], -v[30:31]
	;; [unrolled: 5-line block ×3, first 2 shown]
	v_add_f64 v[30:31], v[30:31], v[32:33]
	v_mul_f64 v[48:49], v[236:237], s[22:23]
	v_accvgpr_read_b32 v25, a31
	v_add_f64 v[26:27], v[54:55], -v[26:27]
	v_add_f64 v[28:29], v[28:29], v[30:31]
	v_add_f64 v[24:25], v[48:49], -v[24:25]
	v_add_f64 v[26:27], v[26:27], v[28:29]
	v_add_f64 v[22:23], v[22:23], v[20:21]
	v_add_f64 v[20:21], v[82:83], -v[252:253]
	v_add_f64 v[24:25], v[24:25], v[26:27]
	v_add_f64 v[20:21], v[20:21], v[24:25]
	;; [unrolled: 1-line block ×34, first 2 shown]
	v_lshl_add_u32 v28, v177, 4, v224
	ds_write_b128 v28, v[24:27]
	ds_write_b128 v28, v[20:23] offset:16
	ds_write_b128 v28, v[16:19] offset:32
	;; [unrolled: 1-line block ×16, first 2 shown]
.LBB0_7:
	s_or_b64 exec, exec, s[26:27]
	v_accvgpr_read_b32 v176, a2
	v_lshlrev_b32_e32 v0, 5, v176
	s_waitcnt lgkmcnt(0)
	; wave barrier
	s_waitcnt lgkmcnt(0)
	global_load_dwordx4 v[136:139], v0, s[0:1] offset:16
	global_load_dwordx4 v[148:151], v0, s[0:1]
	v_add_u16_e32 v0, 34, v176
	s_movk_i32 s8, 0xf1
	v_mul_lo_u16_sdwa v1, v0, s8 dst_sel:DWORD dst_unused:UNUSED_PAD src0_sel:BYTE_0 src1_sel:DWORD
	v_lshrrev_b16_e32 v1, 12, v1
	v_mul_lo_u16_e32 v1, 17, v1
	v_sub_u16_e32 v32, v0, v1
	v_lshlrev_b16_e32 v0, 1, v32
	v_and_b32_e32 v0, 0xfe, v0
	v_lshlrev_b32_e32 v0, 4, v0
	global_load_dwordx4 v[218:221], v0, s[0:1] offset:16
	global_load_dwordx4 v[226:229], v0, s[0:1]
	v_add_u16_e32 v0, 51, v176
	v_mul_lo_u16_sdwa v1, v0, s8 dst_sel:DWORD dst_unused:UNUSED_PAD src0_sel:BYTE_0 src1_sel:DWORD
	v_lshrrev_b16_e32 v1, 12, v1
	v_mul_lo_u16_e32 v1, 17, v1
	v_sub_u16_e32 v33, v0, v1
	v_lshlrev_b16_e32 v0, 1, v33
	v_and_b32_e32 v0, 0xfe, v0
	v_lshlrev_b32_e32 v0, 4, v0
	global_load_dwordx4 v[132:135], v0, s[0:1] offset:16
	global_load_dwordx4 v[128:131], v0, s[0:1]
	v_add_u16_e32 v0, 0x44, v176
	;; [unrolled: 10-line block ×5, first 2 shown]
	v_mul_lo_u16_sdwa v1, v0, s8 dst_sel:DWORD dst_unused:UNUSED_PAD src0_sel:BYTE_0 src1_sel:DWORD
	v_lshrrev_b16_e32 v1, 12, v1
	v_mul_lo_u16_e32 v1, 17, v1
	v_sub_u16_e32 v141, v0, v1
	v_lshlrev_b16_e32 v0, 1, v141
	v_and_b32_e32 v0, 0xfe, v0
	v_lshlrev_b32_e32 v0, 4, v0
	global_load_dwordx4 v[240:243], v0, s[0:1] offset:16
	global_load_dwordx4 v[244:247], v0, s[0:1]
	ds_read_b128 v[28:31], v140
	ds_read_b128 v[24:27], v140 offset:272
	ds_read_b128 v[36:39], v140 offset:2176
	;; [unrolled: 1-line block ×23, first 2 shown]
	s_mov_b32 s8, 0xe8584caa
	s_mov_b32 s9, 0x3febb67a
	;; [unrolled: 1-line block ×4, first 2 shown]
	s_waitcnt lgkmcnt(0)
	; wave barrier
	s_waitcnt vmcnt(13) lgkmcnt(0)
	v_mul_f64 v[116:117], v[48:49], v[138:139]
	s_waitcnt vmcnt(12)
	v_mul_f64 v[94:95], v[38:39], v[150:151]
	v_fma_f64 v[94:95], v[36:37], v[148:149], -v[94:95]
	v_mul_f64 v[106:107], v[36:37], v[150:151]
	v_mul_f64 v[36:37], v[46:47], v[138:139]
	v_fma_f64 v[108:109], v[44:45], v[136:137], -v[36:37]
	v_mul_f64 v[36:37], v[42:43], v[150:151]
	v_fma_f64 v[110:111], v[40:41], v[148:149], -v[36:37]
	;; [unrolled: 2-line block ×3, first 2 shown]
	v_mul_f64 v[44:45], v[44:45], v[138:139]
	s_waitcnt vmcnt(10)
	v_mul_f64 v[36:37], v[54:55], v[228:229]
	v_fma_f64 v[118:119], v[52:53], v[226:227], -v[36:37]
	v_mul_f64 v[36:37], v[62:63], v[220:221]
	v_fma_f64 v[122:123], v[60:61], v[218:219], -v[36:37]
	v_fmac_f64_e32 v[106:107], v[38:39], v[148:149]
	v_fmac_f64_e32 v[44:45], v[46:47], v[136:137]
	v_add_f64 v[38:39], v[94:95], v[108:109]
	v_mul_f64 v[112:113], v[40:41], v[150:151]
	s_waitcnt vmcnt(9)
	v_accvgpr_write_b32 a147, v135
	s_waitcnt vmcnt(8)
	v_mul_f64 v[36:37], v[58:59], v[130:131]
	v_fma_f64 v[124:125], v[56:57], v[128:129], -v[36:37]
	v_mul_f64 v[126:127], v[56:57], v[130:131]
	v_accvgpr_write_b32 a155, v131
	v_mul_f64 v[36:37], v[66:67], v[134:135]
	v_accvgpr_write_b32 a154, v130
	v_accvgpr_write_b32 a153, v129
	;; [unrolled: 1-line block ×3, first 2 shown]
	v_fmac_f64_e32 v[126:127], v[58:59], v[128:129]
	v_fma_f64 v[128:129], v[64:65], v[132:133], -v[36:37]
	v_mul_f64 v[130:131], v[64:65], v[134:135]
	s_waitcnt vmcnt(6)
	v_mul_f64 v[36:37], v[70:71], v[154:155]
	v_accvgpr_write_b32 a146, v134
	v_accvgpr_write_b32 a145, v133
	v_accvgpr_write_b32 a144, v132
	v_fmac_f64_e32 v[130:131], v[66:67], v[132:133]
	v_fma_f64 v[132:133], v[68:69], v[152:153], -v[36:37]
	v_mul_f64 v[36:37], v[80:81], v[146:147]
	v_fma_f64 v[142:143], v[78:79], v[144:145], -v[36:37]
	v_mul_f64 v[78:79], v[78:79], v[146:147]
	v_accvgpr_write_b32 a159, v147
	s_waitcnt vmcnt(4)
	v_mul_f64 v[36:37], v[76:77], v[162:163]
	v_mul_f64 v[134:135], v[68:69], v[154:155]
	v_accvgpr_write_b32 a167, v155
	v_accvgpr_write_b32 a158, v146
	;; [unrolled: 1-line block ×4, first 2 shown]
	v_fmac_f64_e32 v[78:79], v[80:81], v[144:145]
	v_fma_f64 v[144:145], v[74:75], v[160:161], -v[36:37]
	v_mul_f64 v[36:37], v[84:85], v[158:159]
	v_accvgpr_write_b32 a166, v154
	v_accvgpr_write_b32 a165, v153
	;; [unrolled: 1-line block ×3, first 2 shown]
	v_fmac_f64_e32 v[134:135], v[70:71], v[152:153]
	v_fma_f64 v[152:153], v[82:83], v[156:157], -v[36:37]
	v_mul_f64 v[154:155], v[82:83], v[158:159]
	v_accvgpr_write_b32 a183, v159
	s_waitcnt vmcnt(2)
	v_mul_f64 v[36:37], v[88:89], v[170:171]
	v_accvgpr_write_b32 a182, v158
	v_accvgpr_write_b32 a181, v157
	;; [unrolled: 1-line block ×3, first 2 shown]
	v_fmac_f64_e32 v[154:155], v[84:85], v[156:157]
	v_fma_f64 v[156:157], v[86:87], v[168:169], -v[36:37]
	v_mul_f64 v[158:159], v[86:87], v[170:171]
	v_accvgpr_write_b32 a199, v171
	v_mul_f64 v[36:37], v[100:101], v[166:167]
	v_accvgpr_write_b32 a198, v170
	v_accvgpr_write_b32 a197, v169
	;; [unrolled: 1-line block ×3, first 2 shown]
	v_fmac_f64_e32 v[158:159], v[88:89], v[168:169]
	v_fma_f64 v[168:169], v[98:99], v[164:165], -v[36:37]
	s_waitcnt vmcnt(0)
	v_mul_f64 v[36:37], v[92:93], v[246:247]
	v_fma_f64 v[170:171], v[90:91], v[244:245], -v[36:37]
	v_mul_f64 v[36:37], v[104:105], v[242:243]
	v_fma_f64 v[174:175], v[102:103], v[240:241], -v[36:37]
	v_add_f64 v[36:37], v[28:29], v[94:95]
	v_fmac_f64_e32 v[28:29], -0.5, v[38:39]
	v_add_f64 v[38:39], v[106:107], -v[44:45]
	v_fmac_f64_e32 v[112:113], v[42:43], v[148:149]
	v_fma_f64 v[40:41], s[8:9], v[38:39], v[28:29]
	v_fmac_f64_e32 v[28:29], s[10:11], v[38:39]
	v_add_f64 v[38:39], v[30:31], v[106:107]
	v_add_f64 v[42:43], v[106:107], v[44:45]
	v_fmac_f64_e32 v[116:117], v[50:51], v[136:137]
	v_add_f64 v[38:39], v[38:39], v[44:45]
	v_fmac_f64_e32 v[30:31], -0.5, v[42:43]
	v_add_f64 v[44:45], v[94:95], -v[108:109]
	v_add_f64 v[46:47], v[110:111], v[114:115]
	v_mul_f64 v[120:121], v[52:53], v[228:229]
	v_mul_f64 v[60:61], v[60:61], v[220:221]
	v_fma_f64 v[42:43], s[10:11], v[44:45], v[30:31]
	v_fmac_f64_e32 v[30:31], s[8:9], v[44:45]
	v_add_f64 v[44:45], v[24:25], v[110:111]
	v_fmac_f64_e32 v[24:25], -0.5, v[46:47]
	v_add_f64 v[46:47], v[112:113], -v[116:117]
	v_add_f64 v[50:51], v[112:113], v[116:117]
	v_fmac_f64_e32 v[120:121], v[54:55], v[226:227]
	v_fmac_f64_e32 v[60:61], v[62:63], v[218:219]
	v_fma_f64 v[48:49], s[8:9], v[46:47], v[24:25]
	v_fmac_f64_e32 v[24:25], s[10:11], v[46:47]
	v_add_f64 v[46:47], v[26:27], v[112:113]
	v_fmac_f64_e32 v[26:27], -0.5, v[50:51]
	v_add_f64 v[52:53], v[110:111], -v[114:115]
	v_add_f64 v[54:55], v[118:119], v[122:123]
	v_fma_f64 v[50:51], s[10:11], v[52:53], v[26:27]
	v_fmac_f64_e32 v[26:27], s[8:9], v[52:53]
	v_add_f64 v[52:53], v[20:21], v[118:119]
	v_fmac_f64_e32 v[20:21], -0.5, v[54:55]
	v_add_f64 v[54:55], v[120:121], -v[60:61]
	v_fma_f64 v[56:57], s[8:9], v[54:55], v[20:21]
	v_fmac_f64_e32 v[20:21], s[10:11], v[54:55]
	v_add_f64 v[54:55], v[22:23], v[120:121]
	v_add_f64 v[58:59], v[120:121], v[60:61]
	;; [unrolled: 1-line block ×3, first 2 shown]
	v_fmac_f64_e32 v[22:23], -0.5, v[58:59]
	v_add_f64 v[60:61], v[118:119], -v[122:123]
	v_add_f64 v[62:63], v[124:125], v[128:129]
	v_fma_f64 v[58:59], s[10:11], v[60:61], v[22:23]
	v_fmac_f64_e32 v[22:23], s[8:9], v[60:61]
	v_add_f64 v[60:61], v[16:17], v[124:125]
	v_fmac_f64_e32 v[16:17], -0.5, v[62:63]
	v_add_f64 v[62:63], v[126:127], -v[130:131]
	v_add_f64 v[66:67], v[126:127], v[130:131]
	v_fma_f64 v[64:65], s[8:9], v[62:63], v[16:17]
	v_fmac_f64_e32 v[16:17], s[10:11], v[62:63]
	v_add_f64 v[62:63], v[18:19], v[126:127]
	v_fmac_f64_e32 v[18:19], -0.5, v[66:67]
	v_add_f64 v[68:69], v[124:125], -v[128:129]
	v_add_f64 v[70:71], v[132:133], v[142:143]
	v_mul_f64 v[146:147], v[74:75], v[162:163]
	v_add_f64 v[36:37], v[36:37], v[108:109]
	v_fma_f64 v[66:67], s[10:11], v[68:69], v[18:19]
	v_fmac_f64_e32 v[18:19], s[8:9], v[68:69]
	v_add_f64 v[68:69], v[12:13], v[132:133]
	v_fmac_f64_e32 v[12:13], -0.5, v[70:71]
	v_add_f64 v[70:71], v[134:135], -v[78:79]
	v_fmac_f64_e32 v[146:147], v[76:77], v[160:161]
	v_mul_f64 v[98:99], v[98:99], v[166:167]
	v_accvgpr_write_b32 a191, v167
	v_add_f64 v[44:45], v[44:45], v[114:115]
	v_add_f64 v[46:47], v[46:47], v[116:117]
	v_fma_f64 v[74:75], s[8:9], v[70:71], v[12:13]
	v_fmac_f64_e32 v[12:13], s[10:11], v[70:71]
	v_add_f64 v[70:71], v[14:15], v[134:135]
	v_add_f64 v[76:77], v[134:135], v[78:79]
	ds_write_b128 v140, v[36:39]
	ds_write_b128 v140, v[40:43] offset:272
	ds_write_b128 v140, v[28:31] offset:544
	;; [unrolled: 1-line block ×5, first 2 shown]
	v_and_b32_e32 v24, 0xff, v32
	v_accvgpr_write_b32 a190, v166
	v_accvgpr_write_b32 a189, v165
	;; [unrolled: 1-line block ×3, first 2 shown]
	v_fmac_f64_e32 v[98:99], v[100:101], v[164:165]
	v_add_f64 v[52:53], v[52:53], v[122:123]
	v_add_f64 v[70:71], v[70:71], v[78:79]
	v_fmac_f64_e32 v[14:15], -0.5, v[76:77]
	v_add_f64 v[78:79], v[132:133], -v[142:143]
	v_add_f64 v[80:81], v[144:145], v[152:153]
	v_lshl_add_u32 v164, v24, 4, v224
	v_fma_f64 v[76:77], s[10:11], v[78:79], v[14:15]
	v_fmac_f64_e32 v[14:15], s[8:9], v[78:79]
	v_add_f64 v[78:79], v[8:9], v[144:145]
	v_fmac_f64_e32 v[8:9], -0.5, v[80:81]
	v_add_f64 v[80:81], v[146:147], -v[154:155]
	v_add_f64 v[84:85], v[146:147], v[154:155]
	ds_write_b128 v164, v[52:55] offset:1632
	ds_write_b128 v164, v[56:59] offset:1904
	;; [unrolled: 1-line block ×3, first 2 shown]
	v_and_b32_e32 v20, 0xff, v33
	v_mul_f64 v[172:173], v[90:91], v[246:247]
	v_add_f64 v[60:61], v[60:61], v[128:129]
	v_add_f64 v[62:63], v[62:63], v[130:131]
	v_fma_f64 v[82:83], s[8:9], v[80:81], v[8:9]
	v_fmac_f64_e32 v[8:9], s[10:11], v[80:81]
	v_add_f64 v[80:81], v[10:11], v[146:147]
	v_fmac_f64_e32 v[10:11], -0.5, v[84:85]
	v_add_f64 v[86:87], v[144:145], -v[152:153]
	v_add_f64 v[88:89], v[156:157], v[168:169]
	v_lshl_add_u32 v165, v20, 4, v224
	v_fmac_f64_e32 v[172:173], v[92:93], v[244:245]
	v_fma_f64 v[84:85], s[10:11], v[86:87], v[10:11]
	v_fmac_f64_e32 v[10:11], s[8:9], v[86:87]
	v_add_f64 v[86:87], v[4:5], v[156:157]
	v_fmac_f64_e32 v[4:5], -0.5, v[88:89]
	v_add_f64 v[88:89], v[158:159], -v[98:99]
	v_add_f64 v[92:93], v[158:159], v[98:99]
	ds_write_b128 v165, v[60:63] offset:2448
	ds_write_b128 v165, v[64:67] offset:2720
	;; [unrolled: 1-line block ×3, first 2 shown]
	v_and_b32_e32 v16, 0xff, v34
	v_add_f64 v[68:69], v[68:69], v[142:143]
	v_fma_f64 v[90:91], s[8:9], v[88:89], v[4:5]
	v_fmac_f64_e32 v[4:5], s[10:11], v[88:89]
	v_add_f64 v[88:89], v[6:7], v[158:159]
	v_fmac_f64_e32 v[6:7], -0.5, v[92:93]
	v_add_f64 v[94:95], v[156:157], -v[168:169]
	v_lshl_add_u32 v166, v16, 4, v224
	v_mul_f64 v[180:181], v[102:103], v[242:243]
	v_fma_f64 v[92:93], s[10:11], v[94:95], v[6:7]
	v_fmac_f64_e32 v[6:7], s[8:9], v[94:95]
	v_add_f64 v[94:95], v[0:1], v[170:171]
	ds_write_b128 v166, v[68:71] offset:3264
	ds_write_b128 v166, v[74:77] offset:3536
	;; [unrolled: 1-line block ×3, first 2 shown]
	v_and_b32_e32 v12, 0xff, v35
	v_fmac_f64_e32 v[180:181], v[104:105], v[240:241]
	v_add_f64 v[78:79], v[78:79], v[152:153]
	v_add_f64 v[80:81], v[80:81], v[154:155]
	;; [unrolled: 1-line block ×5, first 2 shown]
	v_lshl_add_u32 v167, v12, 4, v224
	v_fmac_f64_e32 v[0:1], -0.5, v[94:95]
	v_add_f64 v[94:95], v[172:173], -v[180:181]
	ds_write_b128 v167, v[78:81] offset:4080
	ds_write_b128 v167, v[82:85] offset:4352
	;; [unrolled: 1-line block ×3, first 2 shown]
	v_and_b32_e32 v8, 0xff, v97
	v_add_f64 v[86:87], v[86:87], v[168:169]
	v_fma_f64 v[102:103], s[8:9], v[94:95], v[0:1]
	v_fmac_f64_e32 v[0:1], s[10:11], v[94:95]
	v_add_f64 v[94:95], v[2:3], v[172:173]
	v_lshl_add_u32 v168, v8, 4, v224
	v_add_f64 v[100:101], v[94:95], v[180:181]
	v_add_f64 v[94:95], v[172:173], v[180:181]
	ds_write_b128 v168, v[86:89] offset:4896
	ds_write_b128 v168, v[90:93] offset:5168
	;; [unrolled: 1-line block ×3, first 2 shown]
	v_and_b32_e32 v4, 0xff, v141
	v_fmac_f64_e32 v[2:3], -0.5, v[94:95]
	v_add_f64 v[94:95], v[170:171], -v[174:175]
	v_lshl_add_u32 v141, v4, 4, v224
	v_fma_f64 v[104:105], s[10:11], v[94:95], v[2:3]
	v_fmac_f64_e32 v[2:3], s[8:9], v[94:95]
	ds_write_b128 v141, v[98:101] offset:5712
	ds_write_b128 v141, v[102:105] offset:5984
	;; [unrolled: 1-line block ×3, first 2 shown]
	s_movk_i32 s8, 0x70
	v_mov_b64_e32 v[0:1], s[0:1]
	v_mad_u64_u32 v[16:17], s[0:1], v176, s8, v[0:1]
	s_waitcnt lgkmcnt(0)
	; wave barrier
	s_waitcnt lgkmcnt(0)
	global_load_dwordx4 v[186:189], v[16:17], off offset:544
	global_load_dwordx4 v[182:185], v[16:17], off offset:560
	;; [unrolled: 1-line block ×14, first 2 shown]
	s_mov_b64 s[0:1], 0x770
	v_lshl_add_u64 v[86:87], v[16:17], 0, s[0:1]
	ds_read_b128 v[0:3], v140 offset:1632
	ds_read_b128 v[4:7], v140 offset:1904
	;; [unrolled: 1-line block ×4, first 2 shown]
	global_load_dwordx4 v[142:145], v[86:87], off offset:2448
	global_load_dwordx4 v[128:131], v[86:87], off offset:2464
	ds_read_b128 v[16:19], v140 offset:4896
	ds_read_b128 v[20:23], v140 offset:5168
	;; [unrolled: 1-line block ×5, first 2 shown]
	global_load_dwordx4 v[124:127], v[86:87], off offset:2496
	global_load_dwordx4 v[132:135], v[86:87], off offset:2480
	ds_read_b128 v[36:39], v140 offset:2448
	ds_read_b128 v[40:43], v140 offset:2176
	ds_read_b128 v[44:47], v140 offset:2720
	ds_read_b128 v[48:51], v140 offset:2992
	ds_read_b128 v[52:55], v140 offset:4080
	ds_read_b128 v[56:59], v140 offset:3808
	global_load_dwordx4 v[152:155], v[86:87], off offset:2528
	global_load_dwordx4 v[236:239], v[86:87], off offset:2512
	ds_read_b128 v[60:63], v140 offset:4352
	ds_read_b128 v[64:67], v140 offset:4624
	;; [unrolled: 1-line block ×6, first 2 shown]
	global_load_dwordx4 v[232:235], v[86:87], off offset:2544
	s_mov_b32 s0, 0x667f3bcd
	s_mov_b32 s1, 0xbfe6a09e
	;; [unrolled: 1-line block ×4, first 2 shown]
	v_accvgpr_write_b32 a187, v163
	v_accvgpr_write_b32 a186, v162
	;; [unrolled: 1-line block ×4, first 2 shown]
	s_waitcnt vmcnt(20) lgkmcnt(14)
	v_mul_f64 v[88:89], v[26:27], v[188:189]
	v_fma_f64 v[86:87], v[24:25], v[186:187], -v[88:89]
	v_mul_f64 v[24:25], v[24:25], v[188:189]
	v_fmac_f64_e32 v[24:25], v[26:27], v[186:187]
	s_waitcnt vmcnt(19)
	v_mul_f64 v[26:27], v[2:3], v[184:185]
	v_fma_f64 v[26:27], v[0:1], v[182:183], -v[26:27]
	v_mul_f64 v[88:89], v[0:1], v[184:185]
	s_waitcnt vmcnt(18) lgkmcnt(11)
	v_mul_f64 v[0:1], v[38:39], v[180:181]
	v_fma_f64 v[90:91], v[36:37], v[178:179], -v[0:1]
	v_mul_f64 v[36:37], v[36:37], v[180:181]
	s_waitcnt vmcnt(17)
	v_mul_f64 v[0:1], v[10:11], v[172:173]
	v_fmac_f64_e32 v[36:37], v[38:39], v[178:179]
	v_fma_f64 v[38:39], v[8:9], v[170:171], -v[0:1]
	s_waitcnt vmcnt(16) lgkmcnt(7)
	v_mul_f64 v[0:1], v[54:55], v[200:201]
	v_fma_f64 v[94:95], v[52:53], v[198:199], -v[0:1]
	v_mul_f64 v[52:53], v[52:53], v[200:201]
	s_waitcnt vmcnt(15)
	v_mul_f64 v[0:1], v[18:19], v[196:197]
	v_fmac_f64_e32 v[52:53], v[54:55], v[198:199]
	v_fma_f64 v[54:55], v[16:17], v[194:195], -v[0:1]
	;; [unrolled: 8-line block ×3, first 2 shown]
	s_waitcnt vmcnt(12)
	v_mul_f64 v[0:1], v[6:7], v[212:213]
	v_fma_f64 v[104:105], v[4:5], v[210:211], -v[0:1]
	s_waitcnt vmcnt(11)
	v_mul_f64 v[0:1], v[46:47], v[208:209]
	v_fma_f64 v[108:109], v[44:45], v[206:207], -v[0:1]
	v_mul_f64 v[44:45], v[44:45], v[208:209]
	s_waitcnt vmcnt(10)
	v_mul_f64 v[0:1], v[14:15], v[204:205]
	v_fmac_f64_e32 v[44:45], v[46:47], v[206:207]
	v_fma_f64 v[46:47], v[12:13], v[202:203], -v[0:1]
	s_waitcnt vmcnt(9)
	v_mul_f64 v[0:1], v[62:63], v[122:123]
	v_fma_f64 v[112:113], v[60:61], v[120:121], -v[0:1]
	v_mul_f64 v[60:61], v[60:61], v[122:123]
	s_waitcnt vmcnt(7)
	v_mul_f64 v[0:1], v[22:23], v[118:119]
	v_fmac_f64_e32 v[60:61], v[62:63], v[120:121]
	v_fma_f64 v[62:63], v[20:21], v[116:117], -v[0:1]
	v_mul_f64 v[114:115], v[20:21], v[118:119]
	v_accvgpr_write_b32 a143, v119
	s_waitcnt lgkmcnt(1)
	v_mul_f64 v[0:1], v[80:81], v[224:225]
	s_waitcnt vmcnt(2)
	v_mul_f64 v[20:21], v[76:77], v[154:155]
	v_accvgpr_write_b32 a142, v118
	v_accvgpr_write_b32 a141, v117
	;; [unrolled: 1-line block ×3, first 2 shown]
	v_fmac_f64_e32 v[114:115], v[22:23], v[116:117]
	v_fma_f64 v[116:117], v[78:79], v[222:223], -v[0:1]
	v_mul_f64 v[118:119], v[78:79], v[224:225]
	v_fma_f64 v[78:79], v[74:75], v[152:153], -v[20:21]
	s_waitcnt vmcnt(0) lgkmcnt(0)
	v_mul_f64 v[20:21], v[84:85], v[234:235]
	v_fmac_f64_e32 v[118:119], v[80:81], v[222:223]
	v_mul_f64 v[80:81], v[74:75], v[154:155]
	v_fma_f64 v[74:75], v[82:83], v[232:233], -v[20:21]
	ds_read_b128 v[20:23], v140
	v_mul_f64 v[92:93], v[8:9], v[172:173]
	v_mul_f64 v[98:99], v[16:17], v[196:197]
	;; [unrolled: 1-line block ×3, first 2 shown]
	v_fmac_f64_e32 v[88:89], v[2:3], v[182:183]
	v_fmac_f64_e32 v[92:93], v[10:11], v[170:171]
	;; [unrolled: 1-line block ×3, first 2 shown]
	v_mul_f64 v[102:103], v[28:29], v[216:217]
	v_fmac_f64_e32 v[106:107], v[6:7], v[210:211]
	v_mul_f64 v[0:1], v[34:35], v[144:145]
	v_mul_f64 v[2:3], v[32:33], v[144:145]
	;; [unrolled: 1-line block ×5, first 2 shown]
	v_fmac_f64_e32 v[102:103], v[30:31], v[214:215]
	v_mul_f64 v[110:111], v[12:13], v[204:205]
	v_fma_f64 v[0:1], v[32:33], v[142:143], -v[0:1]
	v_fmac_f64_e32 v[2:3], v[34:35], v[142:143]
	v_fma_f64 v[8:9], v[40:41], v[128:129], -v[4:5]
	v_fmac_f64_e32 v[10:11], v[42:43], v[128:129]
	v_mul_f64 v[4:5], v[50:51], v[134:135]
	v_fmac_f64_e32 v[6:7], v[50:51], v[132:133]
	v_mul_f64 v[12:13], v[58:59], v[126:127]
	s_waitcnt lgkmcnt(0)
	v_add_f64 v[28:29], v[20:21], -v[38:39]
	v_add_f64 v[30:31], v[22:23], -v[92:93]
	;; [unrolled: 1-line block ×8, first 2 shown]
	v_fma_f64 v[4:5], v[48:49], v[132:133], -v[4:5]
	v_fma_f64 v[16:17], v[56:57], v[124:125], -v[12:13]
	v_mul_f64 v[18:19], v[56:57], v[126:127]
	v_mul_f64 v[12:13], v[66:67], v[238:239]
	v_fma_f64 v[20:21], v[20:21], 2.0, -v[28:29]
	v_fma_f64 v[22:23], v[22:23], 2.0, -v[30:31]
	v_fma_f64 v[26:27], v[26:27], 2.0, -v[32:33]
	v_fma_f64 v[38:39], v[88:89], 2.0, -v[34:35]
	v_fma_f64 v[48:49], v[86:87], 2.0, -v[40:41]
	v_fma_f64 v[24:25], v[24:25], 2.0, -v[42:43]
	v_fma_f64 v[54:55], v[90:91], 2.0, -v[50:51]
	v_fma_f64 v[36:37], v[36:37], 2.0, -v[52:53]
	v_fmac_f64_e32 v[110:111], v[14:15], v[202:203]
	v_fmac_f64_e32 v[18:19], v[58:59], v[124:125]
	v_fma_f64 v[12:13], v[64:65], v[236:237], -v[12:13]
	v_mul_f64 v[14:15], v[64:65], v[238:239]
	v_add_f64 v[56:57], v[20:21], -v[26:27]
	v_add_f64 v[58:59], v[22:23], -v[38:39]
	;; [unrolled: 1-line block ×4, first 2 shown]
	v_fma_f64 v[26:27], v[20:21], 2.0, -v[56:57]
	v_fma_f64 v[38:39], v[22:23], 2.0, -v[58:59]
	;; [unrolled: 1-line block ×4, first 2 shown]
	v_add_f64 v[20:21], v[26:27], -v[20:21]
	v_add_f64 v[22:23], v[38:39], -v[22:23]
	v_fmac_f64_e32 v[14:15], v[66:67], v[236:237]
	v_fma_f64 v[36:37], v[26:27], 2.0, -v[20:21]
	v_fma_f64 v[38:39], v[38:39], 2.0, -v[22:23]
	v_add_f64 v[66:67], v[30:31], v[32:33]
	v_add_f64 v[50:51], v[42:43], v[50:51]
	v_add_f64 v[48:49], v[28:29], -v[34:35]
	v_fma_f64 v[30:31], v[30:31], 2.0, -v[66:67]
	v_add_f64 v[68:69], v[40:41], -v[52:53]
	v_fma_f64 v[34:35], v[42:43], 2.0, -v[50:51]
	ds_write_b128 v140, v[36:39]
	ds_read_b128 v[36:39], v140 offset:272
	v_fma_f64 v[28:29], v[28:29], 2.0, -v[48:49]
	v_fma_f64 v[32:33], v[40:41], 2.0, -v[68:69]
	v_fma_f64 v[26:27], s[0:1], v[34:35], v[30:31]
	v_fma_f64 v[24:25], s[0:1], v[32:33], v[28:29]
	v_fmac_f64_e32 v[26:27], s[8:9], v[32:33]
	v_fmac_f64_e32 v[24:25], s[0:1], v[34:35]
	v_fma_f64 v[90:91], v[30:31], 2.0, -v[26:27]
	v_fma_f64 v[30:31], s[8:9], v[50:51], v[66:67]
	v_fma_f64 v[88:89], v[28:29], 2.0, -v[24:25]
	v_add_f64 v[32:33], v[56:57], -v[64:65]
	v_add_f64 v[34:35], v[58:59], v[54:55]
	v_fmac_f64_e32 v[30:31], s[8:9], v[68:69]
	v_add_f64 v[64:65], v[70:71], -v[112:113]
	v_fma_f64 v[54:55], v[58:59], 2.0, -v[34:35]
	v_fma_f64 v[28:29], s[8:9], v[68:69], v[48:49]
	v_fma_f64 v[58:59], v[66:67], 2.0, -v[30:31]
	v_add_f64 v[66:67], v[102:103], -v[60:61]
	v_fma_f64 v[60:61], v[70:71], 2.0, -v[64:65]
	v_add_f64 v[70:71], v[108:109], -v[116:117]
	ds_write_b128 v140, v[88:91] offset:816
	ds_read_b128 v[88:91], v140 offset:544
	s_waitcnt lgkmcnt(2)
	v_add_f64 v[40:41], v[36:37], -v[46:47]
	v_add_f64 v[46:47], v[104:105], -v[62:63]
	v_fmac_f64_e32 v[80:81], v[76:77], v[152:153]
	v_mul_f64 v[76:77], v[82:83], v[234:235]
	v_fmac_f64_e32 v[28:29], s[0:1], v[50:51]
	v_fma_f64 v[36:37], v[36:37], 2.0, -v[40:41]
	v_fma_f64 v[50:51], v[104:105], 2.0, -v[46:47]
	;; [unrolled: 1-line block ×3, first 2 shown]
	v_add_f64 v[92:93], v[36:37], -v[50:51]
	v_add_f64 v[98:99], v[60:61], -v[82:83]
	;; [unrolled: 1-line block ×3, first 2 shown]
	v_fma_f64 v[50:51], v[36:37], 2.0, -v[92:93]
	v_fma_f64 v[36:37], v[60:61], 2.0, -v[98:99]
	v_fmac_f64_e32 v[76:77], v[84:85], v[232:233]
	v_fma_f64 v[52:53], v[56:57], 2.0, -v[32:33]
	v_fma_f64 v[56:57], v[48:49], 2.0, -v[28:29]
	v_add_f64 v[48:49], v[106:107], -v[114:115]
	v_fma_f64 v[68:69], v[102:103], 2.0, -v[66:67]
	v_add_f64 v[86:87], v[44:45], -v[118:119]
	v_add_f64 v[36:37], v[50:51], -v[36:37]
	v_add_f64 v[84:85], v[42:43], v[46:47]
	v_add_f64 v[102:103], v[66:67], v[70:71]
	v_fma_f64 v[38:39], v[38:39], 2.0, -v[42:43]
	v_fma_f64 v[44:45], v[44:45], 2.0, -v[86:87]
	;; [unrolled: 1-line block ×3, first 2 shown]
	v_add_f64 v[82:83], v[40:41], -v[48:49]
	v_fma_f64 v[42:43], v[42:43], 2.0, -v[84:85]
	v_add_f64 v[86:87], v[64:65], -v[86:87]
	v_fma_f64 v[50:51], v[66:67], 2.0, -v[102:103]
	v_fma_f64 v[62:63], v[106:107], 2.0, -v[48:49]
	v_add_f64 v[100:101], v[68:69], -v[44:45]
	v_fma_f64 v[40:41], v[40:41], 2.0, -v[82:83]
	v_fma_f64 v[48:49], v[64:65], 2.0, -v[86:87]
	v_fma_f64 v[46:47], s[0:1], v[50:51], v[42:43]
	v_fma_f64 v[44:45], s[0:1], v[48:49], v[40:41]
	v_fmac_f64_e32 v[46:47], s[8:9], v[48:49]
	v_add_f64 v[48:49], v[92:93], -v[100:101]
	v_add_f64 v[94:95], v[38:39], -v[62:63]
	v_fmac_f64_e32 v[44:45], s[0:1], v[50:51]
	v_fma_f64 v[70:71], v[42:43], 2.0, -v[46:47]
	v_fma_f64 v[64:65], v[92:93], 2.0, -v[48:49]
	v_fma_f64 v[42:43], s[8:9], v[102:103], v[84:85]
	s_waitcnt lgkmcnt(0)
	v_add_f64 v[16:17], v[88:89], -v[16:17]
	v_add_f64 v[18:19], v[90:91], -v[18:19]
	;; [unrolled: 1-line block ×5, first 2 shown]
	v_fma_f64 v[62:63], v[38:39], 2.0, -v[94:95]
	v_fma_f64 v[38:39], v[68:69], 2.0, -v[100:101]
	;; [unrolled: 1-line block ×3, first 2 shown]
	v_fma_f64 v[40:41], s[8:9], v[86:87], v[82:83]
	v_fmac_f64_e32 v[42:43], s[8:9], v[86:87]
	v_fma_f64 v[86:87], v[88:89], 2.0, -v[16:17]
	v_fma_f64 v[88:89], v[90:91], 2.0, -v[18:19]
	v_add_f64 v[78:79], v[8:9], -v[78:79]
	v_fma_f64 v[10:11], v[10:11], 2.0, -v[80:81]
	v_add_f64 v[12:13], v[0:1], -v[12:13]
	;; [unrolled: 2-line block ×3, first 2 shown]
	v_fma_f64 v[6:7], v[6:7], 2.0, -v[92:93]
	v_add_f64 v[50:51], v[94:95], v[98:99]
	v_fma_f64 v[8:9], v[8:9], 2.0, -v[78:79]
	v_fma_f64 v[0:1], v[0:1], 2.0, -v[12:13]
	;; [unrolled: 1-line block ×3, first 2 shown]
	v_add_f64 v[98:99], v[88:89], -v[10:11]
	v_add_f64 v[6:7], v[2:3], -v[6:7]
	v_fma_f64 v[66:67], v[94:95], 2.0, -v[50:51]
	v_add_f64 v[94:95], v[86:87], -v[8:9]
	v_fma_f64 v[10:11], v[88:89], 2.0, -v[98:99]
	v_add_f64 v[4:5], v[0:1], -v[4:5]
	v_fma_f64 v[2:3], v[2:3], 2.0, -v[6:7]
	v_add_f64 v[78:79], v[18:19], v[78:79]
	v_add_f64 v[88:89], v[14:15], v[90:91]
	v_fma_f64 v[8:9], v[86:87], 2.0, -v[94:95]
	v_fma_f64 v[0:1], v[0:1], 2.0, -v[4:5]
	v_add_f64 v[254:255], v[10:11], -v[2:3]
	v_add_f64 v[80:81], v[16:17], -v[80:81]
	v_fma_f64 v[2:3], v[18:19], 2.0, -v[78:79]
	v_add_f64 v[86:87], v[12:13], -v[92:93]
	v_fma_f64 v[14:15], v[14:15], 2.0, -v[88:89]
	v_add_f64 v[38:39], v[62:63], -v[38:39]
	v_add_f64 v[252:253], v[8:9], -v[0:1]
	v_fma_f64 v[76:77], v[10:11], 2.0, -v[254:255]
	v_fma_f64 v[0:1], v[16:17], 2.0, -v[80:81]
	;; [unrolled: 1-line block ×3, first 2 shown]
	v_fma_f64 v[10:11], s[0:1], v[14:15], v[2:3]
	v_fma_f64 v[18:19], s[8:9], v[88:89], v[78:79]
	v_fma_f64 v[62:63], v[62:63], 2.0, -v[38:39]
	v_fma_f64 v[74:75], v[8:9], 2.0, -v[252:253]
	v_fma_f64 v[8:9], s[0:1], v[12:13], v[0:1]
	v_fmac_f64_e32 v[10:11], s[8:9], v[12:13]
	v_fma_f64 v[16:17], s[8:9], v[86:87], v[80:81]
	v_fmac_f64_e32 v[18:19], s[8:9], v[86:87]
	s_add_u32 s8, s12, 0x1980
	ds_write_b128 v140, v[52:55] offset:1632
	ds_write_b128 v140, v[56:59] offset:2448
	;; [unrolled: 1-line block ×7, first 2 shown]
	v_accvgpr_read_b32 v20, a121
	v_fmac_f64_e32 v[40:41], s[0:1], v[102:103]
	v_fmac_f64_e32 v[8:9], s[0:1], v[14:15]
	v_add_f64 v[12:13], v[94:95], -v[6:7]
	v_add_f64 v[14:15], v[98:99], v[4:5]
	v_fmac_f64_e32 v[16:17], s[0:1], v[88:89]
	s_addc_u32 s9, s13, 0
	v_lshl_add_u32 v92, v20, 4, v72
	v_lshlrev_b32_e32 v60, 4, v176
	v_fma_f64 v[82:83], v[82:83], 2.0, -v[40:41]
	v_fma_f64 v[84:85], v[84:85], 2.0, -v[42:43]
	;; [unrolled: 1-line block ×8, first 2 shown]
	ds_write_b128 v92, v[68:71] offset:1088
	ds_write_b128 v92, v[64:67] offset:1904
	;; [unrolled: 1-line block ×15, first 2 shown]
	s_waitcnt lgkmcnt(0)
	; wave barrier
	s_waitcnt lgkmcnt(0)
	global_load_dwordx4 v[32:35], v60, s[8:9]
	global_load_dwordx4 v[28:31], v60, s[8:9] offset:384
	global_load_dwordx4 v[20:23], v60, s[8:9] offset:768
	;; [unrolled: 1-line block ×9, first 2 shown]
	ds_read_b128 v[74:77], v140
	ds_read_b128 v[78:81], v140 offset:384
	v_mov_b32_e32 v61, 0
	v_lshl_add_u64 v[70:71], s[8:9], 0, v[60:61]
	global_load_dwordx4 v[60:63], v60, s[8:9] offset:3840
	s_movk_i32 s0, 0x1000
	v_add_co_u32_e64 v68, s[0:1], s0, v70
	v_accvgpr_write_b32 a151, v123
	s_nop 0
	v_addc_co_u32_e64 v69, s[0:1], 0, v71, s[0:1]
	global_load_dwordx4 v[64:67], v[68:69], off offset:128
	v_accvgpr_write_b32 a179, v145
	v_accvgpr_write_b32 a171, v131
	;; [unrolled: 1-line block ×23, first 2 shown]
	s_waitcnt vmcnt(11) lgkmcnt(1)
	v_mul_f64 v[82:83], v[76:77], v[34:35]
	v_mul_f64 v[84:85], v[74:75], v[34:35]
	v_fma_f64 v[82:83], v[74:75], v[32:33], -v[82:83]
	v_fmac_f64_e32 v[84:85], v[76:77], v[32:33]
	s_waitcnt vmcnt(10) lgkmcnt(0)
	v_mul_f64 v[74:75], v[80:81], v[30:31]
	ds_read_b128 v[32:35], v140 offset:768
	v_mul_f64 v[76:77], v[78:79], v[30:31]
	v_fma_f64 v[74:75], v[78:79], v[28:29], -v[74:75]
	v_fmac_f64_e32 v[76:77], v[80:81], v[28:29]
	ds_read_b128 v[28:31], v140 offset:1152
	s_waitcnt vmcnt(9) lgkmcnt(1)
	v_mul_f64 v[78:79], v[34:35], v[22:23]
	v_fma_f64 v[78:79], v[32:33], v[20:21], -v[78:79]
	v_mul_f64 v[80:81], v[32:33], v[22:23]
	v_fmac_f64_e32 v[80:81], v[34:35], v[20:21]
	s_waitcnt vmcnt(8) lgkmcnt(0)
	v_mul_f64 v[32:33], v[30:31], v[42:43]
	v_fma_f64 v[32:33], v[28:29], v[40:41], -v[32:33]
	v_mul_f64 v[34:35], v[28:29], v[42:43]
	v_accvgpr_read_b32 v28, a5
	v_fmac_f64_e32 v[34:35], v[30:31], v[40:41]
	global_load_dwordx4 v[28:31], v28, s[8:9]
	ds_read_b128 v[20:23], v140 offset:1536
	s_waitcnt vmcnt(8) lgkmcnt(0)
	v_mul_f64 v[40:41], v[22:23], v[38:39]
	v_mul_f64 v[42:43], v[20:21], v[38:39]
	v_fma_f64 v[40:41], v[20:21], v[36:37], -v[40:41]
	v_fmac_f64_e32 v[42:43], v[22:23], v[36:37]
	global_load_dwordx4 v[20:23], v[68:69], off offset:896
	global_load_dwordx4 v[36:39], v[68:69], off offset:1280
	ds_write_b128 v140, v[82:85]
	global_load_dwordx4 v[82:85], v[68:69], off offset:1664
	ds_write_b128 v140, v[74:77] offset:384
	global_load_dwordx4 v[72:75], v73, s[8:9]
	ds_write_b128 v140, v[78:81] offset:768
	ds_read_b128 v[76:79], v140 offset:1920
	ds_write_b128 v140, v[32:35] offset:1152
	ds_write_b128 v140, v[40:43] offset:1536
	ds_read_b128 v[40:43], v140 offset:2304
	s_waitcnt vmcnt(11) lgkmcnt(3)
	v_mul_f64 v[32:33], v[78:79], v[26:27]
	v_mul_f64 v[34:35], v[76:77], v[26:27]
	v_fma_f64 v[32:33], v[76:77], v[24:25], -v[32:33]
	v_fmac_f64_e32 v[34:35], v[78:79], v[24:25]
	ds_read_b128 v[24:27], v140 offset:2688
	ds_write_b128 v140, v[32:35] offset:1920
	s_waitcnt vmcnt(10) lgkmcnt(2)
	v_mul_f64 v[32:33], v[42:43], v[46:47]
	v_mul_f64 v[34:35], v[40:41], v[46:47]
	v_fma_f64 v[32:33], v[40:41], v[44:45], -v[32:33]
	v_fmac_f64_e32 v[34:35], v[42:43], v[44:45]
	ds_read_b128 v[40:43], v140 offset:3072
	ds_write_b128 v140, v[32:35] offset:2304
	;; [unrolled: 7-line block ×7, first 2 shown]
	s_waitcnt vmcnt(4) lgkmcnt(3)
	v_mul_f64 v[32:33], v[42:43], v[30:31]
	v_mul_f64 v[34:35], v[40:41], v[30:31]
	v_fma_f64 v[32:33], v[40:41], v[28:29], -v[32:33]
	v_fmac_f64_e32 v[34:35], v[42:43], v[28:29]
	ds_write_b128 v140, v[32:35] offset:4608
	ds_read_b128 v[32:35], v140 offset:5376
	s_waitcnt vmcnt(3) lgkmcnt(3)
	v_mul_f64 v[28:29], v[26:27], v[22:23]
	v_mul_f64 v[30:31], v[24:25], v[22:23]
	v_fma_f64 v[28:29], v[24:25], v[20:21], -v[28:29]
	v_fmac_f64_e32 v[30:31], v[26:27], v[20:21]
	ds_read_b128 v[20:23], v140 offset:5760
	s_waitcnt vmcnt(2) lgkmcnt(1)
	v_mul_f64 v[24:25], v[34:35], v[38:39]
	v_mul_f64 v[26:27], v[32:33], v[38:39]
	v_fma_f64 v[24:25], v[32:33], v[36:37], -v[24:25]
	v_fmac_f64_e32 v[26:27], v[34:35], v[36:37]
	ds_write_b128 v140, v[24:27] offset:5376
	ds_read_b128 v[24:27], v140 offset:6144
	ds_write_b128 v140, v[28:31] offset:4992
	s_waitcnt vmcnt(1) lgkmcnt(3)
	v_mul_f64 v[28:29], v[22:23], v[84:85]
	v_mul_f64 v[30:31], v[20:21], v[84:85]
	v_fma_f64 v[28:29], v[20:21], v[82:83], -v[28:29]
	v_fmac_f64_e32 v[30:31], v[22:23], v[82:83]
	s_waitcnt vmcnt(0) lgkmcnt(1)
	v_mul_f64 v[20:21], v[26:27], v[74:75]
	v_mul_f64 v[22:23], v[24:25], v[74:75]
	v_fma_f64 v[20:21], v[24:25], v[72:73], -v[20:21]
	v_fmac_f64_e32 v[22:23], v[26:27], v[72:73]
	ds_write_b128 v140, v[28:31] offset:5760
	ds_write_b128 v140, v[20:23] offset:6144
	s_and_saveexec_b64 s[0:1], vcc
	s_cbranch_execz .LBB0_9
; %bb.8:
	global_load_dwordx4 v[24:27], v[70:71], off offset:272
	ds_read_b128 v[20:23], v140 offset:272
	s_waitcnt vmcnt(0) lgkmcnt(0)
	v_mul_f64 v[28:29], v[22:23], v[26:27]
	v_mul_f64 v[30:31], v[20:21], v[26:27]
	v_fma_f64 v[28:29], v[20:21], v[24:25], -v[28:29]
	v_fmac_f64_e32 v[30:31], v[22:23], v[24:25]
	global_load_dwordx4 v[24:27], v[70:71], off offset:656
	ds_read_b128 v[20:23], v140 offset:656
	ds_write_b128 v140, v[28:31] offset:272
	s_waitcnt vmcnt(0) lgkmcnt(1)
	v_mul_f64 v[28:29], v[22:23], v[26:27]
	v_mul_f64 v[30:31], v[20:21], v[26:27]
	v_fma_f64 v[28:29], v[20:21], v[24:25], -v[28:29]
	v_fmac_f64_e32 v[30:31], v[22:23], v[24:25]
	global_load_dwordx4 v[24:27], v[70:71], off offset:1040
	ds_read_b128 v[20:23], v140 offset:1040
	ds_write_b128 v140, v[28:31] offset:656
	;; [unrolled: 8-line block ×16, first 2 shown]
	s_waitcnt vmcnt(0) lgkmcnt(1)
	v_mul_f64 v[28:29], v[22:23], v[26:27]
	v_mul_f64 v[30:31], v[20:21], v[26:27]
	v_fma_f64 v[28:29], v[20:21], v[24:25], -v[28:29]
	v_fmac_f64_e32 v[30:31], v[22:23], v[24:25]
	ds_write_b128 v140, v[28:31] offset:6416
.LBB0_9:
	s_or_b64 exec, exec, s[0:1]
	s_waitcnt lgkmcnt(0)
	; wave barrier
	s_waitcnt lgkmcnt(0)
	ds_read_b128 v[76:79], v140
	ds_read_b128 v[84:87], v140 offset:384
	ds_read_b128 v[72:75], v140 offset:768
	;; [unrolled: 1-line block ×16, first 2 shown]
	s_and_saveexec_b64 s[0:1], vcc
	s_cbranch_execz .LBB0_11
; %bb.10:
	v_accvgpr_read_b32 v0, a3
	v_lshl_add_u32 v52, v176, 4, v0
	ds_read_b128 v[248:251], v140 offset:272
	ds_read_b128 v[0:3], v52 offset:656
	;; [unrolled: 1-line block ×17, first 2 shown]
.LBB0_11:
	s_or_b64 exec, exec, s[0:1]
	s_waitcnt lgkmcnt(14)
	v_add_f64 v[52:53], v[76:77], v[84:85]
	v_add_f64 v[54:55], v[78:79], v[86:87]
	;; [unrolled: 1-line block ×4, first 2 shown]
	s_waitcnt lgkmcnt(13)
	v_add_f64 v[52:53], v[52:53], v[64:65]
	v_add_f64 v[54:55], v[54:55], v[66:67]
	s_waitcnt lgkmcnt(12)
	v_add_f64 v[52:53], v[52:53], v[56:57]
	v_add_f64 v[54:55], v[54:55], v[58:59]
	;; [unrolled: 3-line block ×11, first 2 shown]
	s_waitcnt lgkmcnt(2)
	v_add_f64 v[52:53], v[52:53], v[68:69]
	s_mov_b32 s10, 0x5d8e7cdc
	s_mov_b32 s14, 0x2a9d6da3
	;; [unrolled: 1-line block ×7, first 2 shown]
	v_add_f64 v[54:55], v[54:55], v[70:71]
	s_waitcnt lgkmcnt(1)
	v_add_f64 v[52:53], v[52:53], v[80:81]
	s_waitcnt lgkmcnt(0)
	v_add_f64 v[94:95], v[86:87], v[90:91]
	v_add_f64 v[86:87], v[86:87], -v[90:91]
	s_mov_b32 s11, 0xbfd71e95
	s_mov_b32 s0, 0x370991
	s_mov_b32 s15, 0xbfe58eea
	s_mov_b32 s8, 0x75d4884
	s_mov_b32 s19, 0xbfeca52d
	s_mov_b32 s12, 0x2b2883cd
	s_mov_b32 s23, 0xbfefdd0d
	s_mov_b32 s16, 0x3259b75e
	s_mov_b32 s27, 0xbfeec746
	s_mov_b32 s20, 0xc61f0d01
	s_mov_b32 s35, 0xbfe9895b
	s_mov_b32 s24, 0x6ed5f1bb
	s_mov_b32 s39, 0xbfe0d888
	s_mov_b32 s28, 0x910ea3b9
	s_mov_b32 s36, 0x7faef3
	v_add_u32_e32 v174, 0x110, v92
	v_add_u32_e32 v169, 0x220, v92
	v_add_f64 v[54:55], v[54:55], v[82:83]
	v_add_f64 v[52:53], v[52:53], v[88:89]
	;; [unrolled: 1-line block ×3, first 2 shown]
	v_add_f64 v[84:85], v[84:85], -v[88:89]
	v_mul_f64 v[88:89], v[86:87], s[10:11]
	s_mov_b32 s1, 0x3fedd6d0
	v_mul_f64 v[102:103], v[86:87], s[14:15]
	s_mov_b32 s9, 0x3fe7a5f6
	;; [unrolled: 2-line block ×8, first 2 shown]
	v_add_f64 v[54:55], v[54:55], v[90:91]
	v_fma_f64 v[90:91], s[0:1], v[92:93], v[88:89]
	v_fma_f64 v[88:89], v[92:93], s[0:1], -v[88:89]
	v_fma_f64 v[104:105], s[8:9], v[92:93], v[102:103]
	v_fma_f64 v[102:103], v[92:93], s[8:9], -v[102:103]
	v_fma_f64 v[112:113], s[12:13], v[92:93], v[110:111]
	v_fma_f64 v[110:111], v[92:93], s[12:13], -v[110:111]
	v_fma_f64 v[120:121], s[16:17], v[92:93], v[118:119]
	v_fma_f64 v[118:119], v[92:93], s[16:17], -v[118:119]
	v_fma_f64 v[128:129], s[20:21], v[92:93], v[126:127]
	v_fma_f64 v[126:127], v[92:93], s[20:21], -v[126:127]
	v_fma_f64 v[142:143], s[24:25], v[92:93], v[134:135]
	v_fma_f64 v[134:135], v[92:93], s[24:25], -v[134:135]
	v_fma_f64 v[154:155], s[28:29], v[92:93], v[152:153]
	v_fma_f64 v[152:153], v[92:93], s[28:29], -v[152:153]
	v_fma_f64 v[160:161], s[36:37], v[92:93], v[86:87]
	v_fma_f64 v[86:87], v[92:93], s[36:37], -v[86:87]
	v_add_f64 v[90:91], v[76:77], v[90:91]
	v_mul_f64 v[98:99], v[94:95], s[0:1]
	s_mov_b32 s31, 0x3fd71e95
	s_mov_b32 s30, s10
	v_add_f64 v[88:89], v[76:77], v[88:89]
	v_add_f64 v[104:105], v[76:77], v[104:105]
	v_mul_f64 v[106:107], v[94:95], s[8:9]
	s_mov_b32 s47, 0x3fe58eea
	s_mov_b32 s46, s14
	v_add_f64 v[102:103], v[76:77], v[102:103]
	;; [unrolled: 5-line block ×8, first 2 shown]
	v_add_f64 v[86:87], v[74:75], v[82:83]
	v_add_f64 v[74:75], v[74:75], -v[82:83]
	v_fma_f64 v[100:101], s[30:31], v[84:85], v[98:99]
	v_fmac_f64_e32 v[98:99], s[10:11], v[84:85]
	v_fma_f64 v[108:109], s[46:47], v[84:85], v[106:107]
	v_fmac_f64_e32 v[106:107], s[14:15], v[84:85]
	;; [unrolled: 2-line block ×8, first 2 shown]
	v_add_f64 v[84:85], v[72:73], v[80:81]
	v_add_f64 v[72:73], v[72:73], -v[80:81]
	v_mul_f64 v[80:81], v[74:75], s[14:15]
	v_fma_f64 v[82:83], s[8:9], v[84:85], v[80:81]
	v_add_f64 v[82:83], v[82:83], v[90:91]
	v_mul_f64 v[90:91], v[86:87], s[8:9]
	v_add_f64 v[98:99], v[78:79], v[98:99]
	v_fma_f64 v[92:93], s[46:47], v[72:73], v[90:91]
	v_fma_f64 v[80:81], v[84:85], s[8:9], -v[80:81]
	v_fmac_f64_e32 v[90:91], s[14:15], v[72:73]
	v_add_f64 v[80:81], v[80:81], v[88:89]
	v_add_f64 v[88:89], v[90:91], v[98:99]
	v_mul_f64 v[90:91], v[74:75], s[22:23]
	v_add_f64 v[100:101], v[78:79], v[100:101]
	v_add_f64 v[108:109], v[78:79], v[108:109]
	;; [unrolled: 1-line block ×15, first 2 shown]
	v_fma_f64 v[94:95], s[16:17], v[84:85], v[90:91]
	v_mul_f64 v[98:99], v[86:87], s[16:17]
	v_fma_f64 v[90:91], v[84:85], s[16:17], -v[90:91]
	v_add_f64 v[92:93], v[92:93], v[100:101]
	v_fma_f64 v[100:101], s[54:55], v[72:73], v[98:99]
	v_add_f64 v[90:91], v[90:91], v[102:103]
	v_fmac_f64_e32 v[98:99], s[22:23], v[72:73]
	v_mul_f64 v[102:103], v[74:75], s[34:35]
	v_add_f64 v[94:95], v[94:95], v[104:105]
	v_add_f64 v[98:99], v[98:99], v[106:107]
	v_fma_f64 v[104:105], s[24:25], v[84:85], v[102:103]
	v_mul_f64 v[106:107], v[86:87], s[24:25]
	v_fma_f64 v[102:103], v[84:85], s[24:25], -v[102:103]
	v_add_f64 v[100:101], v[100:101], v[108:109]
	v_fma_f64 v[108:109], s[52:53], v[72:73], v[106:107]
	v_add_f64 v[102:103], v[102:103], v[110:111]
	v_fmac_f64_e32 v[106:107], s[34:35], v[72:73]
	v_mul_f64 v[110:111], v[74:75], s[42:43]
	v_add_f64 v[104:105], v[104:105], v[112:113]
	v_add_f64 v[106:107], v[106:107], v[114:115]
	;; [unrolled: 10-line block ×5, first 2 shown]
	v_fma_f64 v[142:143], s[12:13], v[84:85], v[134:135]
	v_mul_f64 v[144:145], v[86:87], s[12:13]
	v_mul_f64 v[86:87], v[86:87], s[0:1]
	v_add_f64 v[142:143], v[142:143], v[154:155]
	v_fma_f64 v[134:135], v[84:85], s[12:13], -v[134:135]
	v_mul_f64 v[74:75], v[74:75], s[30:31]
	v_fma_f64 v[154:155], s[10:11], v[72:73], v[86:87]
	v_fmac_f64_e32 v[86:87], s[30:31], v[72:73]
	v_add_f64 v[132:133], v[132:133], v[146:147]
	v_fma_f64 v[146:147], s[18:19], v[72:73], v[144:145]
	v_add_f64 v[134:135], v[134:135], v[152:153]
	v_fmac_f64_e32 v[144:145], s[40:41], v[72:73]
	v_fma_f64 v[152:153], s[0:1], v[84:85], v[74:75]
	v_fma_f64 v[74:75], v[84:85], s[0:1], -v[74:75]
	v_add_f64 v[72:73], v[86:87], v[78:79]
	v_add_f64 v[78:79], v[66:67], v[70:71]
	v_add_f64 v[66:67], v[66:67], -v[70:71]
	v_add_f64 v[74:75], v[74:75], v[76:77]
	v_add_f64 v[76:77], v[64:65], v[68:69]
	v_add_f64 v[64:65], v[64:65], -v[68:69]
	v_mul_f64 v[68:69], v[66:67], s[18:19]
	v_fma_f64 v[70:71], s[12:13], v[76:77], v[68:69]
	v_add_f64 v[70:71], v[70:71], v[82:83]
	v_mul_f64 v[82:83], v[78:79], s[12:13]
	v_fma_f64 v[84:85], s[40:41], v[64:65], v[82:83]
	v_fma_f64 v[68:69], v[76:77], s[12:13], -v[68:69]
	v_fmac_f64_e32 v[82:83], s[18:19], v[64:65]
	v_add_f64 v[68:69], v[68:69], v[80:81]
	v_add_f64 v[80:81], v[82:83], v[88:89]
	v_mul_f64 v[82:83], v[66:67], s[34:35]
	v_fma_f64 v[86:87], s[24:25], v[76:77], v[82:83]
	v_fma_f64 v[82:83], v[76:77], s[24:25], -v[82:83]
	v_mul_f64 v[88:89], v[78:79], s[24:25]
	v_add_f64 v[82:83], v[82:83], v[90:91]
	v_mul_f64 v[90:91], v[66:67], s[50:51]
	v_add_f64 v[84:85], v[84:85], v[92:93]
	v_add_f64 v[86:87], v[86:87], v[94:95]
	v_fma_f64 v[92:93], s[52:53], v[64:65], v[88:89]
	v_fmac_f64_e32 v[88:89], s[34:35], v[64:65]
	v_fma_f64 v[94:95], s[36:37], v[76:77], v[90:91]
	v_fma_f64 v[90:91], v[76:77], s[36:37], -v[90:91]
	v_add_f64 v[88:89], v[88:89], v[98:99]
	v_mul_f64 v[98:99], v[78:79], s[36:37]
	v_add_f64 v[90:91], v[90:91], v[102:103]
	v_mul_f64 v[102:103], v[66:67], s[44:45]
	v_add_f64 v[92:93], v[92:93], v[100:101]
	v_add_f64 v[94:95], v[94:95], v[104:105]
	v_fma_f64 v[100:101], s[42:43], v[64:65], v[98:99]
	v_fmac_f64_e32 v[98:99], s[50:51], v[64:65]
	v_fma_f64 v[104:105], s[20:21], v[76:77], v[102:103]
	v_fma_f64 v[102:103], v[76:77], s[20:21], -v[102:103]
	v_add_f64 v[98:99], v[98:99], v[106:107]
	;; [unrolled: 10-line block ×4, first 2 shown]
	v_mul_f64 v[122:123], v[78:79], s[0:1]
	v_add_f64 v[118:119], v[118:119], v[126:127]
	v_mul_f64 v[126:127], v[66:67], s[22:23]
	v_add_f64 v[116:117], v[116:117], v[124:125]
	v_add_f64 v[120:121], v[120:121], v[128:129]
	v_fma_f64 v[124:125], s[30:31], v[64:65], v[122:123]
	v_fmac_f64_e32 v[122:123], s[10:11], v[64:65]
	v_fma_f64 v[128:129], s[16:17], v[76:77], v[126:127]
	v_fma_f64 v[126:127], v[76:77], s[16:17], -v[126:127]
	v_mul_f64 v[66:67], v[66:67], s[38:39]
	v_add_f64 v[122:123], v[122:123], v[130:131]
	v_mul_f64 v[130:131], v[78:79], s[16:17]
	v_add_f64 v[126:127], v[126:127], v[134:135]
	v_fma_f64 v[134:135], s[28:29], v[76:77], v[66:67]
	v_mul_f64 v[78:79], v[78:79], s[28:29]
	v_fma_f64 v[66:67], v[76:77], s[28:29], -v[66:67]
	v_add_f64 v[128:129], v[128:129], v[142:143]
	v_fma_f64 v[142:143], s[48:49], v[64:65], v[78:79]
	v_add_f64 v[66:67], v[66:67], v[74:75]
	v_fmac_f64_e32 v[78:79], s[38:39], v[64:65]
	v_add_f64 v[74:75], v[58:59], v[62:63]
	v_add_f64 v[58:59], v[58:59], -v[62:63]
	v_add_f64 v[124:125], v[124:125], v[132:133]
	v_fma_f64 v[132:133], s[54:55], v[64:65], v[130:131]
	v_fmac_f64_e32 v[130:131], s[22:23], v[64:65]
	v_add_f64 v[64:65], v[78:79], v[72:73]
	v_add_f64 v[72:73], v[56:57], v[60:61]
	v_add_f64 v[56:57], v[56:57], -v[60:61]
	v_mul_f64 v[60:61], v[58:59], s[22:23]
	v_fma_f64 v[62:63], s[16:17], v[72:73], v[60:61]
	v_add_f64 v[62:63], v[62:63], v[70:71]
	v_mul_f64 v[70:71], v[74:75], s[16:17]
	v_fma_f64 v[76:77], s[54:55], v[56:57], v[70:71]
	v_fma_f64 v[60:61], v[72:73], s[16:17], -v[60:61]
	v_fmac_f64_e32 v[70:71], s[22:23], v[56:57]
	v_add_f64 v[60:61], v[60:61], v[68:69]
	v_add_f64 v[68:69], v[70:71], v[80:81]
	v_mul_f64 v[70:71], v[58:59], s[42:43]
	v_fma_f64 v[78:79], s[36:37], v[72:73], v[70:71]
	v_fma_f64 v[70:71], v[72:73], s[36:37], -v[70:71]
	v_mul_f64 v[80:81], v[74:75], s[36:37]
	v_add_f64 v[70:71], v[70:71], v[82:83]
	v_mul_f64 v[82:83], v[58:59], s[44:45]
	v_add_f64 v[76:77], v[76:77], v[84:85]
	v_add_f64 v[78:79], v[78:79], v[86:87]
	v_fma_f64 v[84:85], s[50:51], v[56:57], v[80:81]
	v_fmac_f64_e32 v[80:81], s[42:43], v[56:57]
	v_fma_f64 v[86:87], s[20:21], v[72:73], v[82:83]
	v_fma_f64 v[82:83], v[72:73], s[20:21], -v[82:83]
	v_add_f64 v[80:81], v[80:81], v[88:89]
	v_mul_f64 v[88:89], v[74:75], s[20:21]
	v_add_f64 v[82:83], v[82:83], v[90:91]
	v_mul_f64 v[90:91], v[58:59], s[30:31]
	v_add_f64 v[84:85], v[84:85], v[92:93]
	v_add_f64 v[86:87], v[86:87], v[94:95]
	v_fma_f64 v[92:93], s[26:27], v[56:57], v[88:89]
	v_fmac_f64_e32 v[88:89], s[44:45], v[56:57]
	v_fma_f64 v[94:95], s[0:1], v[72:73], v[90:91]
	v_fma_f64 v[90:91], v[72:73], s[0:1], -v[90:91]
	v_add_f64 v[88:89], v[88:89], v[98:99]
	;; [unrolled: 10-line block ×4, first 2 shown]
	v_mul_f64 v[114:115], v[74:75], s[28:29]
	v_add_f64 v[110:111], v[110:111], v[118:119]
	v_mul_f64 v[118:119], v[58:59], s[52:53]
	v_add_f64 v[108:109], v[108:109], v[116:117]
	v_add_f64 v[112:113], v[112:113], v[120:121]
	v_fma_f64 v[116:117], s[48:49], v[56:57], v[114:115]
	v_fmac_f64_e32 v[114:115], s[38:39], v[56:57]
	v_fma_f64 v[120:121], s[24:25], v[72:73], v[118:119]
	v_fma_f64 v[118:119], v[72:73], s[24:25], -v[118:119]
	v_mul_f64 v[58:59], v[58:59], s[46:47]
	v_add_f64 v[114:115], v[114:115], v[122:123]
	v_mul_f64 v[122:123], v[74:75], s[24:25]
	v_add_f64 v[118:119], v[118:119], v[126:127]
	v_fma_f64 v[126:127], s[8:9], v[72:73], v[58:59]
	v_mul_f64 v[74:75], v[74:75], s[8:9]
	v_fma_f64 v[58:59], v[72:73], s[8:9], -v[58:59]
	v_add_f64 v[120:121], v[120:121], v[128:129]
	v_fma_f64 v[128:129], s[14:15], v[56:57], v[74:75]
	v_add_f64 v[58:59], v[58:59], v[66:67]
	v_fmac_f64_e32 v[74:75], s[46:47], v[56:57]
	v_add_f64 v[66:67], v[46:47], v[50:51]
	v_add_f64 v[46:47], v[46:47], -v[50:51]
	v_add_f64 v[116:117], v[116:117], v[124:125]
	v_fma_f64 v[124:125], s[34:35], v[56:57], v[122:123]
	v_fmac_f64_e32 v[122:123], s[52:53], v[56:57]
	v_add_f64 v[56:57], v[74:75], v[64:65]
	v_add_f64 v[64:65], v[44:45], v[48:49]
	v_add_f64 v[44:45], v[44:45], -v[48:49]
	v_mul_f64 v[48:49], v[46:47], s[26:27]
	v_fma_f64 v[50:51], s[20:21], v[64:65], v[48:49]
	v_add_f64 v[50:51], v[50:51], v[62:63]
	v_mul_f64 v[62:63], v[66:67], s[20:21]
	v_fma_f64 v[72:73], s[44:45], v[44:45], v[62:63]
	v_fma_f64 v[48:49], v[64:65], s[20:21], -v[48:49]
	v_fmac_f64_e32 v[62:63], s[26:27], v[44:45]
	v_add_f64 v[48:49], v[48:49], v[60:61]
	v_add_f64 v[60:61], v[62:63], v[68:69]
	v_mul_f64 v[62:63], v[46:47], s[48:49]
	v_mul_f64 v[74:75], v[66:67], s[28:29]
	v_add_f64 v[72:73], v[72:73], v[76:77]
	v_fma_f64 v[68:69], s[28:29], v[64:65], v[62:63]
	v_fma_f64 v[76:77], s[38:39], v[44:45], v[74:75]
	v_fma_f64 v[62:63], v[64:65], s[28:29], -v[62:63]
	v_fmac_f64_e32 v[74:75], s[48:49], v[44:45]
	v_add_f64 v[62:63], v[62:63], v[70:71]
	v_add_f64 v[70:71], v[74:75], v[80:81]
	v_mul_f64 v[74:75], v[46:47], s[46:47]
	v_add_f64 v[68:69], v[68:69], v[78:79]
	v_fma_f64 v[78:79], s[8:9], v[64:65], v[74:75]
	v_fma_f64 v[74:75], v[64:65], s[8:9], -v[74:75]
	v_mul_f64 v[80:81], v[66:67], s[8:9]
	v_add_f64 v[74:75], v[74:75], v[82:83]
	v_mul_f64 v[82:83], v[46:47], s[18:19]
	v_add_f64 v[76:77], v[76:77], v[84:85]
	v_add_f64 v[78:79], v[78:79], v[86:87]
	v_fma_f64 v[84:85], s[14:15], v[44:45], v[80:81]
	v_fmac_f64_e32 v[80:81], s[46:47], v[44:45]
	v_fma_f64 v[86:87], s[12:13], v[64:65], v[82:83]
	v_fma_f64 v[82:83], v[64:65], s[12:13], -v[82:83]
	v_add_f64 v[80:81], v[80:81], v[88:89]
	v_mul_f64 v[88:89], v[66:67], s[12:13]
	v_add_f64 v[82:83], v[82:83], v[90:91]
	v_mul_f64 v[90:91], v[46:47], s[42:43]
	v_add_f64 v[84:85], v[84:85], v[92:93]
	v_add_f64 v[86:87], v[86:87], v[94:95]
	v_fma_f64 v[92:93], s[40:41], v[44:45], v[88:89]
	v_fmac_f64_e32 v[88:89], s[18:19], v[44:45]
	v_fma_f64 v[94:95], s[36:37], v[64:65], v[90:91]
	v_fma_f64 v[90:91], v[64:65], s[36:37], -v[90:91]
	v_add_f64 v[88:89], v[88:89], v[98:99]
	;; [unrolled: 10-line block ×3, first 2 shown]
	v_mul_f64 v[106:107], v[66:67], s[16:17]
	v_add_f64 v[102:103], v[102:103], v[110:111]
	v_mul_f64 v[110:111], v[46:47], s[10:11]
	v_add_f64 v[100:101], v[100:101], v[108:109]
	v_add_f64 v[104:105], v[104:105], v[112:113]
	v_fma_f64 v[108:109], s[22:23], v[44:45], v[106:107]
	v_fmac_f64_e32 v[106:107], s[54:55], v[44:45]
	v_fma_f64 v[112:113], s[0:1], v[64:65], v[110:111]
	v_fma_f64 v[110:111], v[64:65], s[0:1], -v[110:111]
	v_mul_f64 v[46:47], v[46:47], s[34:35]
	v_add_f64 v[106:107], v[106:107], v[114:115]
	v_mul_f64 v[114:115], v[66:67], s[0:1]
	v_add_f64 v[110:111], v[110:111], v[118:119]
	v_fma_f64 v[118:119], s[24:25], v[64:65], v[46:47]
	v_mul_f64 v[66:67], v[66:67], s[24:25]
	v_fma_f64 v[46:47], v[64:65], s[24:25], -v[46:47]
	v_add_f64 v[112:113], v[112:113], v[120:121]
	v_fma_f64 v[120:121], s[52:53], v[44:45], v[66:67]
	v_add_f64 v[46:47], v[46:47], v[58:59]
	v_fmac_f64_e32 v[66:67], s[34:35], v[44:45]
	v_add_f64 v[58:59], v[38:39], v[42:43]
	v_add_f64 v[38:39], v[38:39], -v[42:43]
	v_add_f64 v[108:109], v[108:109], v[116:117]
	v_fma_f64 v[116:117], s[30:31], v[44:45], v[114:115]
	v_fmac_f64_e32 v[114:115], s[10:11], v[44:45]
	v_add_f64 v[44:45], v[66:67], v[56:57]
	v_add_f64 v[56:57], v[36:37], v[40:41]
	v_add_f64 v[36:37], v[36:37], -v[40:41]
	v_mul_f64 v[40:41], v[38:39], s[34:35]
	v_fma_f64 v[42:43], s[24:25], v[56:57], v[40:41]
	v_add_f64 v[42:43], v[42:43], v[50:51]
	v_mul_f64 v[50:51], v[58:59], s[24:25]
	v_fma_f64 v[64:65], s[52:53], v[36:37], v[50:51]
	v_fma_f64 v[40:41], v[56:57], s[24:25], -v[40:41]
	v_fmac_f64_e32 v[50:51], s[34:35], v[36:37]
	v_add_f64 v[40:41], v[40:41], v[48:49]
	v_add_f64 v[48:49], v[50:51], v[60:61]
	v_mul_f64 v[50:51], v[38:39], s[44:45]
	v_fma_f64 v[60:61], s[20:21], v[56:57], v[50:51]
	v_mul_f64 v[66:67], v[58:59], s[20:21]
	v_add_f64 v[60:61], v[60:61], v[68:69]
	v_fma_f64 v[68:69], s[26:27], v[36:37], v[66:67]
	v_fma_f64 v[50:51], v[56:57], s[20:21], -v[50:51]
	v_fmac_f64_e32 v[66:67], s[44:45], v[36:37]
	v_add_f64 v[50:51], v[50:51], v[62:63]
	v_add_f64 v[62:63], v[66:67], v[70:71]
	v_mul_f64 v[66:67], v[38:39], s[10:11]
	v_fma_f64 v[70:71], s[0:1], v[56:57], v[66:67]
	v_fma_f64 v[66:67], v[56:57], s[0:1], -v[66:67]
	v_add_f64 v[64:65], v[64:65], v[72:73]
	v_mul_f64 v[72:73], v[58:59], s[0:1]
	v_add_f64 v[66:67], v[66:67], v[74:75]
	v_mul_f64 v[74:75], v[38:39], s[38:39]
	v_add_f64 v[68:69], v[68:69], v[76:77]
	v_add_f64 v[70:71], v[70:71], v[78:79]
	v_fma_f64 v[76:77], s[30:31], v[36:37], v[72:73]
	v_fmac_f64_e32 v[72:73], s[10:11], v[36:37]
	v_fma_f64 v[78:79], s[28:29], v[56:57], v[74:75]
	v_fma_f64 v[74:75], v[56:57], s[28:29], -v[74:75]
	v_add_f64 v[72:73], v[72:73], v[80:81]
	v_mul_f64 v[80:81], v[58:59], s[28:29]
	v_add_f64 v[74:75], v[74:75], v[82:83]
	v_mul_f64 v[82:83], v[38:39], s[54:55]
	v_add_f64 v[76:77], v[76:77], v[84:85]
	v_add_f64 v[78:79], v[78:79], v[86:87]
	v_fma_f64 v[84:85], s[48:49], v[36:37], v[80:81]
	v_fmac_f64_e32 v[80:81], s[38:39], v[36:37]
	;; [unrolled: 10-line block ×4, first 2 shown]
	v_fma_f64 v[104:105], s[36:37], v[56:57], v[102:103]
	v_fma_f64 v[102:103], v[56:57], s[36:37], -v[102:103]
	v_mul_f64 v[38:39], v[38:39], s[40:41]
	v_add_f64 v[98:99], v[98:99], v[106:107]
	v_mul_f64 v[106:107], v[58:59], s[36:37]
	v_add_f64 v[102:103], v[102:103], v[110:111]
	v_fma_f64 v[110:111], s[12:13], v[56:57], v[38:39]
	v_mul_f64 v[58:59], v[58:59], s[12:13]
	v_fma_f64 v[38:39], v[56:57], s[12:13], -v[38:39]
	v_add_f64 v[104:105], v[104:105], v[112:113]
	v_fma_f64 v[112:113], s[18:19], v[36:37], v[58:59]
	v_add_f64 v[38:39], v[38:39], v[46:47]
	v_fmac_f64_e32 v[58:59], s[40:41], v[36:37]
	v_add_f64 v[46:47], v[30:31], v[34:35]
	v_add_f64 v[30:31], v[30:31], -v[34:35]
	v_add_f64 v[100:101], v[100:101], v[108:109]
	v_fma_f64 v[108:109], s[50:51], v[36:37], v[106:107]
	v_fmac_f64_e32 v[106:107], s[42:43], v[36:37]
	v_add_f64 v[36:37], v[58:59], v[44:45]
	v_add_f64 v[44:45], v[28:29], v[32:33]
	v_add_f64 v[28:29], v[28:29], -v[32:33]
	v_mul_f64 v[32:33], v[30:31], s[38:39]
	v_fma_f64 v[34:35], s[28:29], v[44:45], v[32:33]
	v_add_f64 v[34:35], v[34:35], v[42:43]
	v_mul_f64 v[42:43], v[46:47], s[28:29]
	v_fma_f64 v[56:57], s[48:49], v[28:29], v[42:43]
	v_fma_f64 v[32:33], v[44:45], s[28:29], -v[32:33]
	v_fmac_f64_e32 v[42:43], s[38:39], v[28:29]
	v_add_f64 v[32:33], v[32:33], v[40:41]
	v_add_f64 v[40:41], v[42:43], v[48:49]
	v_mul_f64 v[42:43], v[30:31], s[40:41]
	v_fma_f64 v[48:49], s[12:13], v[44:45], v[42:43]
	v_mul_f64 v[58:59], v[46:47], s[12:13]
	v_add_f64 v[48:49], v[48:49], v[60:61]
	v_fma_f64 v[60:61], s[18:19], v[28:29], v[58:59]
	v_fma_f64 v[42:43], v[44:45], s[12:13], -v[42:43]
	v_fmac_f64_e32 v[58:59], s[40:41], v[28:29]
	v_add_f64 v[42:43], v[42:43], v[50:51]
	v_add_f64 v[50:51], v[58:59], v[62:63]
	v_mul_f64 v[58:59], v[30:31], s[22:23]
	v_fma_f64 v[62:63], s[16:17], v[44:45], v[58:59]
	v_fma_f64 v[58:59], v[44:45], s[16:17], -v[58:59]
	v_add_f64 v[56:57], v[56:57], v[64:65]
	v_mul_f64 v[64:65], v[46:47], s[16:17]
	v_add_f64 v[58:59], v[58:59], v[66:67]
	v_mul_f64 v[66:67], v[30:31], s[52:53]
	v_add_f64 v[60:61], v[60:61], v[68:69]
	v_add_f64 v[62:63], v[62:63], v[70:71]
	v_fma_f64 v[68:69], s[54:55], v[28:29], v[64:65]
	v_fmac_f64_e32 v[64:65], s[22:23], v[28:29]
	v_fma_f64 v[70:71], s[24:25], v[44:45], v[66:67]
	v_fma_f64 v[66:67], v[44:45], s[24:25], -v[66:67]
	v_add_f64 v[64:65], v[64:65], v[72:73]
	v_mul_f64 v[72:73], v[46:47], s[24:25]
	v_add_f64 v[66:67], v[66:67], v[74:75]
	v_mul_f64 v[74:75], v[30:31], s[10:11]
	v_add_f64 v[68:69], v[68:69], v[76:77]
	v_add_f64 v[70:71], v[70:71], v[78:79]
	v_fma_f64 v[76:77], s[34:35], v[28:29], v[72:73]
	v_fmac_f64_e32 v[72:73], s[52:53], v[28:29]
	v_fma_f64 v[78:79], s[0:1], v[44:45], v[74:75]
	v_fma_f64 v[74:75], v[44:45], s[0:1], -v[74:75]
	v_add_f64 v[146:147], v[146:147], v[158:159]
	v_add_f64 v[152:153], v[152:153], v[160:161]
	;; [unrolled: 1-line block ×3, first 2 shown]
	v_mul_f64 v[80:81], v[46:47], s[0:1]
	v_add_f64 v[74:75], v[74:75], v[82:83]
	v_mul_f64 v[82:83], v[30:31], s[42:43]
	v_add_f64 v[144:145], v[144:145], v[156:157]
	v_add_f64 v[154:155], v[154:155], v[162:163]
	;; [unrolled: 1-line block ×6, first 2 shown]
	v_fma_f64 v[84:85], s[30:31], v[28:29], v[80:81]
	v_fmac_f64_e32 v[80:81], s[10:11], v[28:29]
	v_fma_f64 v[86:87], s[36:37], v[44:45], v[82:83]
	v_fma_f64 v[82:83], v[44:45], s[36:37], -v[82:83]
	v_add_f64 v[130:131], v[130:131], v[144:145]
	v_add_f64 v[142:143], v[142:143], v[154:155]
	;; [unrolled: 1-line block ×5, first 2 shown]
	v_mul_f64 v[88:89], v[46:47], s[36:37]
	v_add_f64 v[82:83], v[82:83], v[90:91]
	v_mul_f64 v[90:91], v[30:31], s[46:47]
	v_add_f64 v[122:123], v[122:123], v[130:131]
	v_add_f64 v[128:129], v[128:129], v[142:143]
	;; [unrolled: 1-line block ×6, first 2 shown]
	v_fma_f64 v[92:93], s[50:51], v[28:29], v[88:89]
	v_fmac_f64_e32 v[88:89], s[42:43], v[28:29]
	v_fma_f64 v[94:95], s[8:9], v[44:45], v[90:91]
	v_fma_f64 v[90:91], v[44:45], s[8:9], -v[90:91]
	v_mul_f64 v[30:31], v[30:31], s[26:27]
	v_add_f64 v[114:115], v[114:115], v[122:123]
	v_add_f64 v[120:121], v[120:121], v[128:129]
	v_add_f64 v[108:109], v[108:109], v[116:117]
	v_add_f64 v[110:111], v[110:111], v[118:119]
	v_add_f64 v[88:89], v[88:89], v[98:99]
	v_mul_f64 v[98:99], v[46:47], s[8:9]
	v_add_f64 v[90:91], v[90:91], v[102:103]
	v_fma_f64 v[102:103], s[20:21], v[44:45], v[30:31]
	v_mul_f64 v[46:47], v[46:47], s[20:21]
	v_add_f64 v[116:117], v[22:23], -v[26:27]
	v_add_f64 v[106:107], v[106:107], v[114:115]
	v_add_f64 v[112:113], v[112:113], v[120:121]
	;; [unrolled: 1-line block ×4, first 2 shown]
	v_fma_f64 v[104:105], s[44:45], v[28:29], v[46:47]
	v_add_f64 v[110:111], v[20:21], v[24:25]
	v_add_f64 v[114:115], v[20:21], -v[24:25]
	v_mul_f64 v[24:25], v[116:117], s[42:43]
	v_add_f64 v[104:105], v[104:105], v[112:113]
	v_add_f64 v[112:113], v[22:23], v[26:27]
	v_fma_f64 v[20:21], s[36:37], v[110:111], v[24:25]
	v_fma_f64 v[24:25], v[110:111], s[36:37], -v[24:25]
	v_mul_f64 v[26:27], v[112:113], s[36:37]
	v_add_f64 v[24:25], v[24:25], v[32:33]
	v_mul_f64 v[32:33], v[116:117], s[30:31]
	v_add_f64 v[92:93], v[92:93], v[100:101]
	v_fma_f64 v[100:101], s[14:15], v[28:29], v[98:99]
	v_fmac_f64_e32 v[98:99], s[46:47], v[28:29]
	v_fmac_f64_e32 v[46:47], s[26:27], v[28:29]
	v_fma_f64 v[22:23], s[50:51], v[114:115], v[26:27]
	v_fmac_f64_e32 v[26:27], s[42:43], v[114:115]
	v_fma_f64 v[28:29], s[0:1], v[110:111], v[32:33]
	v_fma_f64 v[32:33], v[110:111], s[0:1], -v[32:33]
	v_fma_f64 v[30:31], v[44:45], s[20:21], -v[30:31]
	v_add_f64 v[20:21], v[20:21], v[34:35]
	v_add_f64 v[26:27], v[26:27], v[40:41]
	v_mul_f64 v[34:35], v[112:113], s[0:1]
	v_add_f64 v[32:33], v[32:33], v[42:43]
	v_mul_f64 v[40:41], v[116:117], s[38:39]
	v_mul_f64 v[42:43], v[112:113], s[28:29]
	v_add_f64 v[100:101], v[100:101], v[108:109]
	v_add_f64 v[98:99], v[98:99], v[106:107]
	;; [unrolled: 1-line block ×4, first 2 shown]
	v_fma_f64 v[30:31], s[10:11], v[114:115], v[34:35]
	v_fmac_f64_e32 v[34:35], s[30:31], v[114:115]
	v_fma_f64 v[36:37], s[28:29], v[110:111], v[40:41]
	v_fma_f64 v[38:39], s[48:49], v[114:115], v[42:43]
	v_add_f64 v[28:29], v[28:29], v[48:49]
	v_add_f64 v[30:31], v[30:31], v[60:61]
	;; [unrolled: 1-line block ×5, first 2 shown]
	v_fma_f64 v[40:41], v[110:111], s[28:29], -v[40:41]
	v_fmac_f64_e32 v[42:43], s[38:39], v[114:115]
	v_mul_f64 v[48:49], v[116:117], s[46:47]
	v_mul_f64 v[50:51], v[112:113], s[8:9]
	;; [unrolled: 1-line block ×5, first 2 shown]
	v_add_f64 v[22:23], v[22:23], v[56:57]
	v_add_f64 v[40:41], v[40:41], v[58:59]
	;; [unrolled: 1-line block ×3, first 2 shown]
	v_fma_f64 v[44:45], s[8:9], v[110:111], v[48:49]
	v_fma_f64 v[46:47], s[14:15], v[114:115], v[50:51]
	v_fma_f64 v[56:57], s[24:25], v[110:111], v[60:61]
	v_fma_f64 v[58:59], s[52:53], v[114:115], v[62:63]
	v_fma_f64 v[64:65], s[12:13], v[110:111], v[68:69]
	v_add_f64 v[44:45], v[44:45], v[70:71]
	v_add_f64 v[46:47], v[46:47], v[76:77]
	v_fma_f64 v[48:49], v[110:111], s[8:9], -v[48:49]
	v_fmac_f64_e32 v[50:51], s[46:47], v[114:115]
	v_add_f64 v[56:57], v[56:57], v[78:79]
	v_add_f64 v[58:59], v[58:59], v[84:85]
	v_fma_f64 v[60:61], v[110:111], s[24:25], -v[60:61]
	v_fmac_f64_e32 v[62:63], s[34:35], v[114:115]
	v_add_f64 v[64:65], v[64:65], v[86:87]
	v_mul_f64 v[70:71], v[112:113], s[12:13]
	v_fma_f64 v[68:69], v[110:111], s[12:13], -v[68:69]
	v_mul_f64 v[76:77], v[116:117], s[26:27]
	v_mul_f64 v[78:79], v[112:113], s[20:21]
	;; [unrolled: 1-line block ×4, first 2 shown]
	v_add_f64 v[48:49], v[48:49], v[66:67]
	v_add_f64 v[50:51], v[50:51], v[72:73]
	v_add_f64 v[60:61], v[60:61], v[74:75]
	v_add_f64 v[62:63], v[62:63], v[80:81]
	v_fma_f64 v[66:67], s[18:19], v[114:115], v[70:71]
	v_add_f64 v[68:69], v[68:69], v[82:83]
	v_fmac_f64_e32 v[70:71], s[40:41], v[114:115]
	v_fma_f64 v[72:73], s[20:21], v[110:111], v[76:77]
	v_fma_f64 v[74:75], s[44:45], v[114:115], v[78:79]
	v_fma_f64 v[76:77], v[110:111], s[20:21], -v[76:77]
	v_fmac_f64_e32 v[78:79], s[26:27], v[114:115]
	v_fma_f64 v[80:81], s[16:17], v[110:111], v[84:85]
	v_fma_f64 v[82:83], s[22:23], v[114:115], v[86:87]
	v_fma_f64 v[84:85], v[110:111], s[16:17], -v[84:85]
	v_fmac_f64_e32 v[86:87], s[54:55], v[114:115]
	v_add_f64 v[66:67], v[66:67], v[92:93]
	v_add_f64 v[70:71], v[70:71], v[88:89]
	;; [unrolled: 1-line block ×10, first 2 shown]
	s_waitcnt lgkmcnt(0)
	; wave barrier
	ds_write_b128 v96, v[52:55]
	ds_write_b128 v96, v[20:23] offset:16
	ds_write_b128 v96, v[28:31] offset:32
	ds_write_b128 v96, v[36:39] offset:48
	ds_write_b128 v96, v[44:47] offset:64
	ds_write_b128 v96, v[56:59] offset:80
	ds_write_b128 v96, v[64:67] offset:96
	ds_write_b128 v96, v[72:75] offset:112
	ds_write_b128 v96, v[80:83] offset:128
	ds_write_b128 v96, v[84:87] offset:144
	ds_write_b128 v96, v[76:79] offset:160
	ds_write_b128 v96, v[68:71] offset:176
	ds_write_b128 v96, v[60:63] offset:192
	ds_write_b128 v96, v[48:51] offset:208
	ds_write_b128 v96, v[40:43] offset:224
	ds_write_b128 v96, v[32:35] offset:240
	ds_write_b128 v96, v[24:27] offset:256
	s_and_saveexec_b64 s[56:57], vcc
	s_cbranch_execz .LBB0_13
; %bb.12:
	v_accvgpr_write_b32 a124, v214
	v_accvgpr_write_b32 a128, v218
	;; [unrolled: 1-line block ×10, first 2 shown]
	v_accvgpr_read_b32 v219, a107
	v_accvgpr_write_b32 a121, v211
	v_accvgpr_write_b32 a122, v212
	;; [unrolled: 1-line block ×3, first 2 shown]
	v_accvgpr_read_b32 v215, a103
	v_accvgpr_write_b32 a132, v226
	v_accvgpr_write_b32 a137, v223
	;; [unrolled: 1-line block ×4, first 2 shown]
	v_accvgpr_read_b32 v218, a106
	v_accvgpr_read_b32 v217, a105
	v_accvgpr_read_b32 v216, a104
	v_accvgpr_read_b32 v223, a111
	v_accvgpr_read_b32 v214, a102
	v_accvgpr_read_b32 v213, a101
	v_accvgpr_read_b32 v212, a100
	v_accvgpr_write_b32 a104, v194
	v_accvgpr_write_b32 a100, v190
	;; [unrolled: 1-line block ×5, first 2 shown]
	v_accvgpr_read_b32 v227, a115
	v_accvgpr_read_b32 v222, a110
	;; [unrolled: 1-line block ×4, first 2 shown]
	v_accvgpr_write_b32 a108, v198
	v_accvgpr_write_b32 a105, v195
	;; [unrolled: 1-line block ×7, first 2 shown]
	v_accvgpr_read_b32 v195, a81
	v_accvgpr_read_b32 v226, a114
	;; [unrolled: 1-line block ×5, first 2 shown]
	v_accvgpr_write_b32 a112, v202
	v_accvgpr_write_b32 a109, v199
	v_accvgpr_write_b32 a110, v200
	v_accvgpr_write_b32 a111, v201
	v_accvgpr_read_b32 v199, a85
	v_accvgpr_read_b32 v193, a79
	;; [unrolled: 1-line block ×6, first 2 shown]
	v_accvgpr_write_b32 a116, v206
	v_accvgpr_write_b32 a113, v203
	;; [unrolled: 1-line block ×4, first 2 shown]
	v_accvgpr_read_b32 v203, a89
	v_accvgpr_read_b32 v197, a83
	;; [unrolled: 1-line block ×4, first 2 shown]
	v_add_f64 v[118:119], v[0:1], -v[192:193]
	v_accvgpr_write_b32 a117, v207
	v_accvgpr_write_b32 a118, v208
	;; [unrolled: 1-line block ×3, first 2 shown]
	v_accvgpr_read_b32 v207, a95
	v_accvgpr_read_b32 v201, a87
	;; [unrolled: 1-line block ×4, first 2 shown]
	v_add_f64 v[116:117], v[4:5], -v[196:197]
	v_mul_f64 v[48:49], v[118:119], s[42:43]
	v_add_f64 v[86:87], v[2:3], v[194:195]
	v_add_f64 v[134:135], v[2:3], -v[194:195]
	v_accvgpr_read_b32 v211, a99
	v_accvgpr_read_b32 v205, a93
	;; [unrolled: 1-line block ×4, first 2 shown]
	v_add_f64 v[114:115], v[252:253], -v[200:201]
	v_mul_f64 v[44:45], v[116:117], s[30:31]
	v_add_f64 v[84:85], v[198:199], v[6:7]
	v_fma_f64 v[50:51], s[36:37], v[86:87], v[48:49]
	v_add_f64 v[132:133], v[6:7], -v[198:199]
	v_add_f64 v[106:107], v[0:1], v[192:193]
	v_mul_f64 v[66:67], v[134:135], s[42:43]
	v_accvgpr_read_b32 v209, a97
	v_accvgpr_read_b32 v208, a96
	;; [unrolled: 1-line block ×3, first 2 shown]
	v_add_f64 v[112:113], v[8:9], -v[204:205]
	v_mul_f64 v[40:41], v[114:115], s[38:39]
	v_add_f64 v[82:83], v[202:203], v[254:255]
	v_fma_f64 v[46:47], s[0:1], v[84:85], v[44:45]
	v_add_f64 v[50:51], v[50:51], v[250:251]
	v_add_f64 v[130:131], v[254:255], -v[202:203]
	v_add_f64 v[104:105], v[196:197], v[4:5]
	v_mul_f64 v[62:63], v[132:133], s[30:31]
	v_fma_f64 v[68:69], v[106:107], s[36:37], -v[66:67]
	v_accvgpr_read_b32 v210, a98
	v_add_f64 v[110:111], v[12:13], -v[208:209]
	v_mul_f64 v[36:37], v[112:113], s[46:47]
	v_add_f64 v[80:81], v[10:11], v[206:207]
	v_fma_f64 v[42:43], s[28:29], v[82:83], v[40:41]
	v_add_f64 v[46:47], v[46:47], v[50:51]
	v_add_f64 v[128:129], v[10:11], -v[206:207]
	v_add_f64 v[102:103], v[200:201], v[252:253]
	v_mul_f64 v[58:59], v[130:131], s[38:39]
	v_fma_f64 v[64:65], v[104:105], s[0:1], -v[62:63]
	v_add_f64 v[68:69], v[68:69], v[248:249]
	v_add_f64 v[108:109], v[16:17], -v[212:213]
	v_mul_f64 v[32:33], v[110:111], s[34:35]
	v_add_f64 v[78:79], v[210:211], v[14:15]
	v_fma_f64 v[38:39], s[8:9], v[80:81], v[36:37]
	v_add_f64 v[42:43], v[42:43], v[46:47]
	v_add_f64 v[126:127], v[14:15], -v[210:211]
	v_add_f64 v[100:101], v[8:9], v[204:205]
	v_mul_f64 v[54:55], v[128:129], s[46:47]
	v_fma_f64 v[60:61], v[102:103], s[28:29], -v[58:59]
	v_add_f64 v[64:65], v[68:69], v[64:65]
	;; [unrolled: 10-line block ×4, first 2 shown]
	v_mul_f64 v[24:25], v[92:93], s[54:55]
	v_add_f64 v[72:73], v[226:227], v[230:231]
	v_fma_f64 v[22:23], s[20:21], v[74:75], v[26:27]
	v_add_f64 v[30:31], v[30:31], v[34:35]
	v_add_f64 v[120:121], v[226:227], -v[230:231]
	v_add_f64 v[90:91], v[216:217], v[220:221]
	v_mul_f64 v[34:35], v[122:123], s[26:27]
	v_fma_f64 v[46:47], v[96:97], s[12:13], -v[42:43]
	v_add_f64 v[52:53], v[52:53], v[56:57]
	v_fma_f64 v[20:21], s[16:17], v[72:73], v[24:25]
	v_add_f64 v[22:23], v[22:23], v[30:31]
	v_add_f64 v[88:89], v[224:225], v[228:229]
	v_mul_f64 v[30:31], v[120:121], s[54:55]
	v_fma_f64 v[38:39], v[90:91], s[20:21], -v[34:35]
	v_add_f64 v[46:47], v[46:47], v[52:53]
	v_add_f64 v[22:23], v[20:21], v[22:23]
	v_fma_f64 v[20:21], v[88:89], s[16:17], -v[30:31]
	v_add_f64 v[38:39], v[38:39], v[46:47]
	v_add_f64 v[20:21], v[20:21], v[38:39]
	v_fma_f64 v[38:39], v[82:83], s[28:29], -v[40:41]
	v_fma_f64 v[40:41], v[84:85], s[0:1], -v[44:45]
	;; [unrolled: 1-line block ×3, first 2 shown]
	v_add_f64 v[44:45], v[44:45], v[250:251]
	v_add_f64 v[40:41], v[40:41], v[44:45]
	v_fma_f64 v[36:37], v[80:81], s[8:9], -v[36:37]
	v_add_f64 v[38:39], v[38:39], v[40:41]
	v_fma_f64 v[32:33], v[78:79], s[24:25], -v[32:33]
	;; [unrolled: 2-line block ×5, first 2 shown]
	v_add_f64 v[26:27], v[26:27], v[28:29]
	v_fmac_f64_e32 v[66:67], s[36:37], v[106:107]
	v_add_f64 v[26:27], v[24:25], v[26:27]
	v_fmac_f64_e32 v[62:63], s[0:1], v[104:105]
	v_add_f64 v[24:25], v[66:67], v[248:249]
	v_fmac_f64_e32 v[58:59], s[28:29], v[102:103]
	v_add_f64 v[24:25], v[24:25], v[62:63]
	v_mul_f64 v[56:57], v[118:119], s[38:39]
	v_fmac_f64_e32 v[54:55], s[8:9], v[100:101]
	v_add_f64 v[24:25], v[58:59], v[24:25]
	v_mul_f64 v[52:53], v[116:117], s[40:41]
	v_fma_f64 v[58:59], s[28:29], v[86:87], v[56:57]
	v_mul_f64 v[144:145], v[134:135], s[38:39]
	v_fmac_f64_e32 v[50:51], s[24:25], v[98:99]
	v_add_f64 v[24:25], v[54:55], v[24:25]
	v_mul_f64 v[48:49], v[114:115], s[22:23]
	v_fma_f64 v[54:55], s[12:13], v[84:85], v[52:53]
	v_add_f64 v[58:59], v[58:59], v[250:251]
	v_mul_f64 v[70:71], v[132:133], s[40:41]
	v_fma_f64 v[146:147], v[106:107], s[28:29], -v[144:145]
	v_add_f64 v[24:25], v[50:51], v[24:25]
	v_mul_f64 v[44:45], v[112:113], s[52:53]
	v_fma_f64 v[50:51], s[16:17], v[82:83], v[48:49]
	v_add_f64 v[54:55], v[54:55], v[58:59]
	v_mul_f64 v[66:67], v[130:131], s[22:23]
	v_fma_f64 v[142:143], v[104:105], s[12:13], -v[70:71]
	v_add_f64 v[146:147], v[146:147], v[248:249]
	v_fmac_f64_e32 v[42:43], s[12:13], v[96:97]
	v_mul_f64 v[40:41], v[110:111], s[10:11]
	v_fma_f64 v[46:47], s[24:25], v[80:81], v[44:45]
	v_add_f64 v[50:51], v[50:51], v[54:55]
	v_mul_f64 v[62:63], v[128:129], s[52:53]
	v_fma_f64 v[68:69], v[102:103], s[16:17], -v[66:67]
	v_add_f64 v[142:143], v[146:147], v[142:143]
	v_fmac_f64_e32 v[34:35], s[20:21], v[90:91]
	v_add_f64 v[24:25], v[42:43], v[24:25]
	v_mul_f64 v[36:37], v[108:109], s[42:43]
	v_fma_f64 v[42:43], s[0:1], v[78:79], v[40:41]
	v_add_f64 v[46:47], v[46:47], v[50:51]
	v_mul_f64 v[58:59], v[126:127], s[10:11]
	v_fma_f64 v[64:65], v[100:101], s[24:25], -v[62:63]
	v_add_f64 v[68:69], v[68:69], v[142:143]
	v_fmac_f64_e32 v[30:31], s[16:17], v[88:89]
	v_add_f64 v[24:25], v[34:35], v[24:25]
	v_mul_f64 v[34:35], v[94:95], s[46:47]
	v_fma_f64 v[38:39], s[36:37], v[76:77], v[36:37]
	v_add_f64 v[42:43], v[42:43], v[46:47]
	v_mul_f64 v[50:51], v[124:125], s[42:43]
	v_fma_f64 v[60:61], v[98:99], s[0:1], -v[58:59]
	v_add_f64 v[64:65], v[64:65], v[68:69]
	v_add_f64 v[24:25], v[30:31], v[24:25]
	v_mul_f64 v[32:33], v[92:93], s[26:27]
	v_fma_f64 v[30:31], s[8:9], v[74:75], v[34:35]
	v_add_f64 v[38:39], v[38:39], v[42:43]
	v_mul_f64 v[42:43], v[122:123], s[46:47]
	v_fma_f64 v[54:55], v[96:97], s[36:37], -v[50:51]
	v_add_f64 v[60:61], v[60:61], v[64:65]
	v_fma_f64 v[28:29], s[20:21], v[72:73], v[32:33]
	v_add_f64 v[30:31], v[30:31], v[38:39]
	v_mul_f64 v[38:39], v[120:121], s[26:27]
	v_fma_f64 v[46:47], v[90:91], s[8:9], -v[42:43]
	v_add_f64 v[54:55], v[54:55], v[60:61]
	v_add_f64 v[30:31], v[28:29], v[30:31]
	v_fma_f64 v[28:29], v[88:89], s[20:21], -v[38:39]
	v_add_f64 v[46:47], v[46:47], v[54:55]
	v_add_f64 v[28:29], v[28:29], v[46:47]
	v_fma_f64 v[46:47], v[82:83], s[16:17], -v[48:49]
	v_fma_f64 v[48:49], v[84:85], s[12:13], -v[52:53]
	v_fma_f64 v[52:53], v[86:87], s[28:29], -v[56:57]
	v_add_f64 v[52:53], v[52:53], v[250:251]
	v_add_f64 v[48:49], v[48:49], v[52:53]
	v_fma_f64 v[44:45], v[80:81], s[24:25], -v[44:45]
	v_add_f64 v[46:47], v[46:47], v[48:49]
	v_fma_f64 v[40:41], v[78:79], s[0:1], -v[40:41]
	v_add_f64 v[44:45], v[44:45], v[46:47]
	v_fma_f64 v[36:37], v[76:77], s[36:37], -v[36:37]
	v_add_f64 v[40:41], v[40:41], v[44:45]
	v_fma_f64 v[34:35], v[74:75], s[8:9], -v[34:35]
	v_add_f64 v[36:37], v[36:37], v[40:41]
	v_fma_f64 v[32:33], v[72:73], s[20:21], -v[32:33]
	v_add_f64 v[34:35], v[34:35], v[36:37]
	v_fmac_f64_e32 v[144:145], s[28:29], v[106:107]
	v_add_f64 v[34:35], v[32:33], v[34:35]
	v_fmac_f64_e32 v[70:71], s[12:13], v[104:105]
	;; [unrolled: 2-line block ×3, first 2 shown]
	v_add_f64 v[32:33], v[32:33], v[70:71]
	v_mul_f64 v[64:65], v[118:119], s[34:35]
	v_fmac_f64_e32 v[62:63], s[24:25], v[100:101]
	v_add_f64 v[32:33], v[66:67], v[32:33]
	v_mul_f64 v[60:61], v[116:117], s[44:45]
	v_fma_f64 v[66:67], s[24:25], v[86:87], v[64:65]
	v_mul_f64 v[156:157], v[134:135], s[34:35]
	v_fmac_f64_e32 v[58:59], s[0:1], v[98:99]
	v_add_f64 v[32:33], v[62:63], v[32:33]
	v_mul_f64 v[56:57], v[114:115], s[10:11]
	v_fma_f64 v[62:63], s[20:21], v[84:85], v[60:61]
	v_add_f64 v[66:67], v[66:67], v[250:251]
	v_mul_f64 v[152:153], v[132:133], s[44:45]
	v_fma_f64 v[158:159], v[106:107], s[24:25], -v[156:157]
	v_add_f64 v[32:33], v[58:59], v[32:33]
	v_mul_f64 v[52:53], v[112:113], s[38:39]
	v_fma_f64 v[58:59], s[0:1], v[82:83], v[56:57]
	v_add_f64 v[62:63], v[62:63], v[66:67]
	v_mul_f64 v[144:145], v[130:131], s[10:11]
	v_fma_f64 v[154:155], v[104:105], s[20:21], -v[152:153]
	v_add_f64 v[158:159], v[158:159], v[248:249]
	v_fmac_f64_e32 v[50:51], s[36:37], v[96:97]
	v_mul_f64 v[48:49], v[110:111], s[54:55]
	v_fma_f64 v[54:55], s[28:29], v[80:81], v[52:53]
	v_add_f64 v[58:59], v[58:59], v[62:63]
	v_mul_f64 v[70:71], v[128:129], s[38:39]
	v_fma_f64 v[146:147], v[102:103], s[0:1], -v[144:145]
	v_add_f64 v[154:155], v[158:159], v[154:155]
	v_fmac_f64_e32 v[42:43], s[8:9], v[90:91]
	v_add_f64 v[32:33], v[50:51], v[32:33]
	v_mul_f64 v[44:45], v[108:109], s[14:15]
	v_fma_f64 v[50:51], s[16:17], v[78:79], v[48:49]
	v_add_f64 v[54:55], v[54:55], v[58:59]
	v_mul_f64 v[66:67], v[126:127], s[54:55]
	v_fma_f64 v[142:143], v[100:101], s[28:29], -v[70:71]
	v_add_f64 v[146:147], v[146:147], v[154:155]
	v_fmac_f64_e32 v[38:39], s[20:21], v[88:89]
	v_add_f64 v[32:33], v[42:43], v[32:33]
	v_mul_f64 v[42:43], v[94:95], s[42:43]
	v_fma_f64 v[46:47], s[8:9], v[76:77], v[44:45]
	v_add_f64 v[50:51], v[50:51], v[54:55]
	v_mul_f64 v[58:59], v[124:125], s[14:15]
	v_fma_f64 v[68:69], v[98:99], s[16:17], -v[66:67]
	v_add_f64 v[142:143], v[142:143], v[146:147]
	v_add_f64 v[32:33], v[38:39], v[32:33]
	v_mul_f64 v[40:41], v[92:93], s[40:41]
	v_fma_f64 v[38:39], s[36:37], v[74:75], v[42:43]
	v_add_f64 v[46:47], v[46:47], v[50:51]
	v_mul_f64 v[50:51], v[122:123], s[42:43]
	v_fma_f64 v[62:63], v[96:97], s[8:9], -v[58:59]
	v_add_f64 v[68:69], v[68:69], v[142:143]
	v_fma_f64 v[36:37], s[12:13], v[72:73], v[40:41]
	v_add_f64 v[38:39], v[38:39], v[46:47]
	v_mul_f64 v[46:47], v[120:121], s[40:41]
	v_fma_f64 v[54:55], v[90:91], s[36:37], -v[50:51]
	v_add_f64 v[62:63], v[62:63], v[68:69]
	v_add_f64 v[38:39], v[36:37], v[38:39]
	v_fma_f64 v[36:37], v[88:89], s[12:13], -v[46:47]
	v_add_f64 v[54:55], v[54:55], v[62:63]
	v_add_f64 v[36:37], v[36:37], v[54:55]
	v_fma_f64 v[54:55], v[82:83], s[0:1], -v[56:57]
	v_fma_f64 v[56:57], v[84:85], s[20:21], -v[60:61]
	;; [unrolled: 1-line block ×3, first 2 shown]
	v_add_f64 v[60:61], v[60:61], v[250:251]
	v_add_f64 v[56:57], v[56:57], v[60:61]
	v_fma_f64 v[52:53], v[80:81], s[28:29], -v[52:53]
	v_add_f64 v[54:55], v[54:55], v[56:57]
	v_fma_f64 v[48:49], v[78:79], s[16:17], -v[48:49]
	;; [unrolled: 2-line block ×5, first 2 shown]
	v_add_f64 v[42:43], v[42:43], v[44:45]
	v_fmac_f64_e32 v[156:157], s[24:25], v[106:107]
	v_add_f64 v[42:43], v[40:41], v[42:43]
	v_fmac_f64_e32 v[152:153], s[20:21], v[104:105]
	;; [unrolled: 2-line block ×3, first 2 shown]
	v_add_f64 v[40:41], v[40:41], v[152:153]
	v_mul_f64 v[142:143], v[118:119], s[26:27]
	v_fmac_f64_e32 v[70:71], s[28:29], v[100:101]
	v_add_f64 v[40:41], v[144:145], v[40:41]
	v_mul_f64 v[68:69], v[116:117], s[48:49]
	v_fma_f64 v[144:145], s[20:21], v[86:87], v[142:143]
	v_accvgpr_write_b32 a77, v164
	v_accvgpr_write_b32 a78, v165
	v_mul_f64 v[164:165], v[134:135], s[26:27]
	v_fmac_f64_e32 v[66:67], s[16:17], v[98:99]
	v_add_f64 v[40:41], v[70:71], v[40:41]
	v_mul_f64 v[64:65], v[114:115], s[46:47]
	v_fma_f64 v[70:71], s[28:29], v[84:85], v[68:69]
	v_add_f64 v[144:145], v[144:145], v[250:251]
	v_mul_f64 v[160:161], v[132:133], s[48:49]
	v_accvgpr_write_b32 a79, v166
	v_accvgpr_write_b32 a80, v167
	v_fma_f64 v[166:167], v[106:107], s[20:21], -v[164:165]
	v_add_f64 v[40:41], v[66:67], v[40:41]
	v_mul_f64 v[60:61], v[112:113], s[18:19]
	v_fma_f64 v[66:67], s[8:9], v[82:83], v[64:65]
	v_add_f64 v[70:71], v[70:71], v[144:145]
	v_mul_f64 v[156:157], v[130:131], s[46:47]
	v_fma_f64 v[162:163], v[104:105], s[28:29], -v[160:161]
	v_add_f64 v[166:167], v[166:167], v[248:249]
	v_fmac_f64_e32 v[58:59], s[8:9], v[96:97]
	v_mul_f64 v[56:57], v[110:111], s[42:43]
	v_fma_f64 v[62:63], s[12:13], v[80:81], v[60:61]
	v_add_f64 v[66:67], v[66:67], v[70:71]
	v_mul_f64 v[152:153], v[128:129], s[18:19]
	v_fma_f64 v[158:159], v[102:103], s[8:9], -v[156:157]
	v_add_f64 v[162:163], v[166:167], v[162:163]
	v_fmac_f64_e32 v[50:51], s[36:37], v[90:91]
	v_add_f64 v[40:41], v[58:59], v[40:41]
	v_mul_f64 v[52:53], v[108:109], s[54:55]
	v_fma_f64 v[58:59], s[36:37], v[78:79], v[56:57]
	v_add_f64 v[62:63], v[62:63], v[66:67]
	v_mul_f64 v[144:145], v[126:127], s[42:43]
	v_fma_f64 v[154:155], v[100:101], s[12:13], -v[152:153]
	v_add_f64 v[158:159], v[158:159], v[162:163]
	v_fmac_f64_e32 v[46:47], s[12:13], v[88:89]
	v_add_f64 v[40:41], v[50:51], v[40:41]
	v_mul_f64 v[50:51], v[94:95], s[10:11]
	v_fma_f64 v[54:55], s[16:17], v[76:77], v[52:53]
	v_add_f64 v[58:59], v[58:59], v[62:63]
	v_mul_f64 v[66:67], v[124:125], s[54:55]
	v_fma_f64 v[146:147], v[98:99], s[36:37], -v[144:145]
	v_add_f64 v[154:155], v[154:155], v[158:159]
	v_add_f64 v[40:41], v[46:47], v[40:41]
	v_mul_f64 v[48:49], v[92:93], s[34:35]
	v_fma_f64 v[46:47], s[0:1], v[74:75], v[50:51]
	v_add_f64 v[54:55], v[54:55], v[58:59]
	v_mul_f64 v[58:59], v[122:123], s[10:11]
	v_fma_f64 v[70:71], v[96:97], s[16:17], -v[66:67]
	v_add_f64 v[146:147], v[146:147], v[154:155]
	v_fma_f64 v[44:45], s[24:25], v[72:73], v[48:49]
	v_add_f64 v[46:47], v[46:47], v[54:55]
	v_mul_f64 v[54:55], v[120:121], s[34:35]
	v_fma_f64 v[62:63], v[90:91], s[0:1], -v[58:59]
	v_add_f64 v[70:71], v[70:71], v[146:147]
	v_add_f64 v[46:47], v[44:45], v[46:47]
	v_fma_f64 v[44:45], v[88:89], s[24:25], -v[54:55]
	v_add_f64 v[62:63], v[62:63], v[70:71]
	v_add_f64 v[44:45], v[44:45], v[62:63]
	v_fma_f64 v[62:63], v[82:83], s[8:9], -v[64:65]
	v_fma_f64 v[64:65], v[84:85], s[28:29], -v[68:69]
	;; [unrolled: 1-line block ×3, first 2 shown]
	v_add_f64 v[68:69], v[68:69], v[250:251]
	v_add_f64 v[64:65], v[64:65], v[68:69]
	v_fma_f64 v[60:61], v[80:81], s[12:13], -v[60:61]
	v_add_f64 v[62:63], v[62:63], v[64:65]
	v_fma_f64 v[56:57], v[78:79], s[36:37], -v[56:57]
	;; [unrolled: 2-line block ×5, first 2 shown]
	v_add_f64 v[50:51], v[50:51], v[52:53]
	v_fmac_f64_e32 v[164:165], s[20:21], v[106:107]
	v_add_f64 v[50:51], v[48:49], v[50:51]
	v_fmac_f64_e32 v[160:161], s[28:29], v[104:105]
	;; [unrolled: 2-line block ×3, first 2 shown]
	v_add_f64 v[48:49], v[48:49], v[160:161]
	v_mul_f64 v[154:155], v[118:119], s[22:23]
	v_accvgpr_write_b32 a84, v170
	v_fmac_f64_e32 v[152:153], s[12:13], v[100:101]
	v_add_f64 v[48:49], v[156:157], v[48:49]
	v_mul_f64 v[146:147], v[116:117], s[42:43]
	v_fma_f64 v[156:157], s[16:17], v[86:87], v[154:155]
	v_accvgpr_write_b32 a85, v171
	v_accvgpr_write_b32 a86, v172
	;; [unrolled: 1-line block ×3, first 2 shown]
	v_mul_f64 v[172:173], v[134:135], s[22:23]
	v_fmac_f64_e32 v[144:145], s[36:37], v[98:99]
	v_add_f64 v[48:49], v[152:153], v[48:49]
	v_mul_f64 v[142:143], v[114:115], s[44:45]
	v_fma_f64 v[152:153], s[36:37], v[84:85], v[146:147]
	v_add_f64 v[156:157], v[156:157], v[250:251]
	v_accvgpr_write_b32 a81, v168
	v_accvgpr_write_b32 a83, v169
	v_mul_f64 v[168:169], v[132:133], s[42:43]
	v_accvgpr_write_b32 a200, v174
	v_fma_f64 v[174:175], v[106:107], s[16:17], -v[172:173]
	v_add_f64 v[48:49], v[144:145], v[48:49]
	v_mul_f64 v[68:69], v[112:113], s[30:31]
	v_fma_f64 v[144:145], s[20:21], v[82:83], v[142:143]
	v_add_f64 v[152:153], v[152:153], v[156:157]
	v_mul_f64 v[164:165], v[130:131], s[44:45]
	v_fma_f64 v[170:171], v[104:105], s[36:37], -v[168:169]
	v_add_f64 v[174:175], v[174:175], v[248:249]
	v_fmac_f64_e32 v[66:67], s[16:17], v[96:97]
	v_mul_f64 v[64:65], v[110:111], s[18:19]
	v_fma_f64 v[70:71], s[0:1], v[80:81], v[68:69]
	v_add_f64 v[144:145], v[144:145], v[152:153]
	v_mul_f64 v[160:161], v[128:129], s[30:31]
	v_fma_f64 v[166:167], v[102:103], s[20:21], -v[164:165]
	v_add_f64 v[170:171], v[174:175], v[170:171]
	v_fmac_f64_e32 v[58:59], s[0:1], v[90:91]
	v_add_f64 v[48:49], v[66:67], v[48:49]
	v_mul_f64 v[60:61], v[108:109], s[38:39]
	v_fma_f64 v[66:67], s[12:13], v[78:79], v[64:65]
	v_add_f64 v[70:71], v[70:71], v[144:145]
	v_mul_f64 v[156:157], v[126:127], s[18:19]
	v_fma_f64 v[162:163], v[100:101], s[0:1], -v[160:161]
	v_add_f64 v[166:167], v[166:167], v[170:171]
	v_fmac_f64_e32 v[54:55], s[24:25], v[88:89]
	v_add_f64 v[48:49], v[58:59], v[48:49]
	v_mul_f64 v[58:59], v[94:95], s[52:53]
	v_fma_f64 v[62:63], s[28:29], v[76:77], v[60:61]
	v_add_f64 v[66:67], v[66:67], v[70:71]
	v_mul_f64 v[144:145], v[124:125], s[38:39]
	v_fma_f64 v[158:159], v[98:99], s[12:13], -v[156:157]
	v_add_f64 v[162:163], v[162:163], v[166:167]
	v_add_f64 v[48:49], v[54:55], v[48:49]
	v_mul_f64 v[56:57], v[92:93], s[46:47]
	v_fma_f64 v[54:55], s[24:25], v[74:75], v[58:59]
	v_add_f64 v[62:63], v[62:63], v[66:67]
	v_mul_f64 v[66:67], v[122:123], s[52:53]
	v_fma_f64 v[152:153], v[96:97], s[28:29], -v[144:145]
	v_add_f64 v[158:159], v[158:159], v[162:163]
	v_fma_f64 v[52:53], s[8:9], v[72:73], v[56:57]
	v_add_f64 v[54:55], v[54:55], v[62:63]
	v_mul_f64 v[62:63], v[120:121], s[46:47]
	v_fma_f64 v[70:71], v[90:91], s[24:25], -v[66:67]
	v_add_f64 v[152:153], v[152:153], v[158:159]
	v_add_f64 v[54:55], v[52:53], v[54:55]
	v_fma_f64 v[52:53], v[88:89], s[8:9], -v[62:63]
	v_add_f64 v[70:71], v[70:71], v[152:153]
	v_add_f64 v[52:53], v[52:53], v[70:71]
	v_fma_f64 v[70:71], v[82:83], s[20:21], -v[142:143]
	v_fma_f64 v[142:143], v[84:85], s[36:37], -v[146:147]
	;; [unrolled: 1-line block ×3, first 2 shown]
	v_add_f64 v[146:147], v[146:147], v[250:251]
	v_add_f64 v[142:143], v[142:143], v[146:147]
	v_fma_f64 v[68:69], v[80:81], s[0:1], -v[68:69]
	v_add_f64 v[70:71], v[70:71], v[142:143]
	v_fma_f64 v[64:65], v[78:79], s[12:13], -v[64:65]
	;; [unrolled: 2-line block ×5, first 2 shown]
	v_add_f64 v[58:59], v[58:59], v[60:61]
	v_fmac_f64_e32 v[172:173], s[16:17], v[106:107]
	v_add_f64 v[58:59], v[56:57], v[58:59]
	v_fmac_f64_e32 v[168:169], s[36:37], v[104:105]
	;; [unrolled: 2-line block ×3, first 2 shown]
	v_add_f64 v[56:57], v[56:57], v[168:169]
	v_mul_f64 v[162:163], v[118:119], s[18:19]
	v_accvgpr_write_b32 a88, v178
	v_fmac_f64_e32 v[160:161], s[0:1], v[100:101]
	v_add_f64 v[56:57], v[164:165], v[56:57]
	v_mul_f64 v[158:159], v[116:117], s[34:35]
	v_fma_f64 v[164:165], s[12:13], v[86:87], v[162:163]
	v_accvgpr_write_b32 a89, v179
	v_accvgpr_write_b32 a90, v180
	;; [unrolled: 1-line block ×3, first 2 shown]
	v_mul_f64 v[180:181], v[134:135], s[18:19]
	v_accvgpr_write_b32 a92, v182
	v_fmac_f64_e32 v[156:157], s[12:13], v[98:99]
	v_add_f64 v[56:57], v[160:161], v[56:57]
	v_mul_f64 v[154:155], v[114:115], s[50:51]
	v_fma_f64 v[160:161], s[24:25], v[84:85], v[158:159]
	v_add_f64 v[164:165], v[164:165], v[250:251]
	v_accvgpr_write_b32 a82, v141
	v_mov_b32_e32 v141, v177
	v_mul_f64 v[176:177], v[132:133], s[34:35]
	v_accvgpr_write_b32 a93, v183
	v_accvgpr_write_b32 a94, v184
	;; [unrolled: 1-line block ×3, first 2 shown]
	v_fma_f64 v[182:183], v[106:107], s[12:13], -v[180:181]
	v_add_f64 v[56:57], v[156:157], v[56:57]
	v_mul_f64 v[146:147], v[112:113], s[44:45]
	v_fma_f64 v[156:157], s[36:37], v[82:83], v[154:155]
	v_add_f64 v[160:161], v[160:161], v[164:165]
	v_mul_f64 v[172:173], v[130:131], s[50:51]
	v_fma_f64 v[178:179], v[104:105], s[24:25], -v[176:177]
	v_add_f64 v[182:183], v[182:183], v[248:249]
	v_fmac_f64_e32 v[144:145], s[28:29], v[96:97]
	v_mul_f64 v[142:143], v[110:111], s[46:47]
	v_fma_f64 v[152:153], s[20:21], v[80:81], v[146:147]
	v_add_f64 v[156:157], v[156:157], v[160:161]
	v_mul_f64 v[168:169], v[128:129], s[44:45]
	v_fma_f64 v[174:175], v[102:103], s[36:37], -v[172:173]
	v_add_f64 v[178:179], v[182:183], v[178:179]
	v_fmac_f64_e32 v[66:67], s[24:25], v[90:91]
	v_add_f64 v[56:57], v[144:145], v[56:57]
	v_mul_f64 v[68:69], v[108:109], s[10:11]
	v_fma_f64 v[144:145], s[8:9], v[78:79], v[142:143]
	v_add_f64 v[152:153], v[152:153], v[156:157]
	v_mul_f64 v[164:165], v[126:127], s[46:47]
	v_fma_f64 v[170:171], v[100:101], s[20:21], -v[168:169]
	v_add_f64 v[174:175], v[174:175], v[178:179]
	v_fmac_f64_e32 v[62:63], s[8:9], v[88:89]
	v_add_f64 v[56:57], v[66:67], v[56:57]
	v_mul_f64 v[66:67], v[94:95], s[22:23]
	v_fma_f64 v[70:71], s[0:1], v[76:77], v[68:69]
	v_add_f64 v[144:145], v[144:145], v[152:153]
	v_mul_f64 v[156:157], v[124:125], s[10:11]
	v_fma_f64 v[166:167], v[98:99], s[8:9], -v[164:165]
	v_add_f64 v[170:171], v[170:171], v[174:175]
	v_add_f64 v[56:57], v[62:63], v[56:57]
	v_mul_f64 v[64:65], v[92:93], s[38:39]
	v_fma_f64 v[62:63], s[16:17], v[74:75], v[66:67]
	v_add_f64 v[70:71], v[70:71], v[144:145]
	v_mul_f64 v[152:153], v[122:123], s[22:23]
	v_fma_f64 v[160:161], v[96:97], s[0:1], -v[156:157]
	v_add_f64 v[166:167], v[166:167], v[170:171]
	v_fma_f64 v[60:61], s[28:29], v[72:73], v[64:65]
	v_add_f64 v[62:63], v[62:63], v[70:71]
	v_mul_f64 v[144:145], v[120:121], s[38:39]
	v_fma_f64 v[70:71], v[90:91], s[16:17], -v[152:153]
	v_add_f64 v[160:161], v[160:161], v[166:167]
	v_add_f64 v[62:63], v[60:61], v[62:63]
	v_fma_f64 v[60:61], v[88:89], s[28:29], -v[144:145]
	v_add_f64 v[70:71], v[70:71], v[160:161]
	v_add_f64 v[60:61], v[60:61], v[70:71]
	v_fma_f64 v[70:71], v[78:79], s[8:9], -v[142:143]
	v_fma_f64 v[142:143], v[80:81], s[20:21], -v[146:147]
	;; [unrolled: 1-line block ×5, first 2 shown]
	v_add_f64 v[158:159], v[158:159], v[250:251]
	v_add_f64 v[154:155], v[154:155], v[158:159]
	;; [unrolled: 1-line block ×4, first 2 shown]
	v_fma_f64 v[68:69], v[76:77], s[0:1], -v[68:69]
	v_add_f64 v[70:71], v[70:71], v[142:143]
	v_fma_f64 v[66:67], v[74:75], s[16:17], -v[66:67]
	v_add_f64 v[68:69], v[68:69], v[70:71]
	;; [unrolled: 2-line block ×3, first 2 shown]
	v_fmac_f64_e32 v[180:181], s[12:13], v[106:107]
	v_add_f64 v[70:71], v[64:65], v[66:67]
	v_fmac_f64_e32 v[176:177], s[24:25], v[104:105]
	v_add_f64 v[64:65], v[180:181], v[248:249]
	;; [unrolled: 2-line block ×3, first 2 shown]
	v_mul_f64 v[170:171], v[118:119], s[14:15]
	v_accvgpr_write_b32 a96, v186
	v_fmac_f64_e32 v[168:169], s[20:21], v[100:101]
	v_add_f64 v[64:65], v[172:173], v[64:65]
	v_mul_f64 v[166:167], v[116:117], s[22:23]
	v_fma_f64 v[172:173], s[8:9], v[86:87], v[170:171]
	v_accvgpr_write_b32 a97, v187
	v_accvgpr_write_b32 a98, v188
	;; [unrolled: 1-line block ×3, first 2 shown]
	v_mul_f64 v[188:189], v[134:135], s[14:15]
	v_fmac_f64_e32 v[164:165], s[8:9], v[98:99]
	v_add_f64 v[64:65], v[168:169], v[64:65]
	v_mul_f64 v[162:163], v[114:115], s[34:35]
	v_fma_f64 v[168:169], s[16:17], v[84:85], v[166:167]
	v_add_f64 v[172:173], v[172:173], v[250:251]
	v_mul_f64 v[184:185], v[132:133], s[22:23]
	v_fma_f64 v[190:191], v[106:107], s[8:9], -v[188:189]
	v_fmac_f64_e32 v[156:157], s[0:1], v[96:97]
	v_add_f64 v[64:65], v[164:165], v[64:65]
	v_mul_f64 v[158:159], v[112:113], s[42:43]
	v_fma_f64 v[164:165], s[24:25], v[82:83], v[162:163]
	v_add_f64 v[168:169], v[168:169], v[172:173]
	v_mul_f64 v[180:181], v[130:131], s[34:35]
	v_fma_f64 v[186:187], v[104:105], s[16:17], -v[184:185]
	v_add_f64 v[190:191], v[190:191], v[248:249]
	v_fmac_f64_e32 v[152:153], s[16:17], v[90:91]
	v_add_f64 v[64:65], v[156:157], v[64:65]
	v_mul_f64 v[154:155], v[110:111], s[48:49]
	v_fma_f64 v[160:161], s[36:37], v[80:81], v[158:159]
	v_add_f64 v[164:165], v[164:165], v[168:169]
	v_mul_f64 v[176:177], v[128:129], s[42:43]
	v_fma_f64 v[182:183], v[102:103], s[24:25], -v[180:181]
	v_add_f64 v[186:187], v[190:191], v[186:187]
	v_fmac_f64_e32 v[144:145], s[28:29], v[88:89]
	v_add_f64 v[64:65], v[152:153], v[64:65]
	v_mul_f64 v[146:147], v[108:109], s[44:45]
	v_fma_f64 v[156:157], s[28:29], v[78:79], v[154:155]
	v_add_f64 v[160:161], v[160:161], v[164:165]
	v_mul_f64 v[172:173], v[126:127], s[48:49]
	v_fma_f64 v[178:179], v[100:101], s[36:37], -v[176:177]
	v_add_f64 v[182:183], v[182:183], v[186:187]
	v_add_f64 v[68:69], v[144:145], v[64:65]
	v_mul_f64 v[144:145], v[94:95], s[40:41]
	v_fma_f64 v[152:153], s[20:21], v[76:77], v[146:147]
	v_add_f64 v[156:157], v[156:157], v[160:161]
	v_mul_f64 v[164:165], v[124:125], s[44:45]
	v_fma_f64 v[174:175], v[98:99], s[28:29], -v[172:173]
	v_add_f64 v[178:179], v[178:179], v[182:183]
	v_mul_f64 v[142:143], v[92:93], s[30:31]
	v_fma_f64 v[66:67], s[12:13], v[74:75], v[144:145]
	v_add_f64 v[152:153], v[152:153], v[156:157]
	v_mul_f64 v[156:157], v[122:123], s[40:41]
	v_fma_f64 v[168:169], v[96:97], s[20:21], -v[164:165]
	v_add_f64 v[174:175], v[174:175], v[178:179]
	v_fma_f64 v[64:65], s[0:1], v[72:73], v[142:143]
	v_add_f64 v[66:67], v[66:67], v[152:153]
	v_mul_f64 v[152:153], v[120:121], s[30:31]
	v_fma_f64 v[160:161], v[90:91], s[12:13], -v[156:157]
	v_add_f64 v[168:169], v[168:169], v[174:175]
	v_add_f64 v[66:67], v[64:65], v[66:67]
	v_fma_f64 v[64:65], v[88:89], s[0:1], -v[152:153]
	v_add_f64 v[160:161], v[160:161], v[168:169]
	v_add_f64 v[64:65], v[64:65], v[160:161]
	v_fma_f64 v[160:161], v[82:83], s[24:25], -v[162:163]
	v_fma_f64 v[162:163], v[84:85], s[16:17], -v[166:167]
	;; [unrolled: 1-line block ×3, first 2 shown]
	v_add_f64 v[166:167], v[166:167], v[250:251]
	v_add_f64 v[162:163], v[162:163], v[166:167]
	v_fma_f64 v[158:159], v[80:81], s[36:37], -v[158:159]
	v_add_f64 v[160:161], v[160:161], v[162:163]
	v_fma_f64 v[154:155], v[78:79], s[28:29], -v[154:155]
	;; [unrolled: 2-line block ×5, first 2 shown]
	v_add_f64 v[144:145], v[144:145], v[146:147]
	v_fmac_f64_e32 v[188:189], s[8:9], v[106:107]
	v_add_f64 v[144:145], v[142:143], v[144:145]
	v_fmac_f64_e32 v[184:185], s[16:17], v[104:105]
	;; [unrolled: 2-line block ×5, first 2 shown]
	v_add_f64 v[142:143], v[176:177], v[142:143]
	v_add_f64 v[2:3], v[2:3], v[250:251]
	;; [unrolled: 1-line block ×3, first 2 shown]
	v_fmac_f64_e32 v[164:165], s[20:21], v[96:97]
	v_add_f64 v[142:143], v[172:173], v[142:143]
	v_mul_f64 v[118:119], v[118:119], s[10:11]
	v_add_f64 v[2:3], v[6:7], v[2:3]
	v_add_f64 v[0:1], v[4:5], v[0:1]
	;; [unrolled: 1-line block ×3, first 2 shown]
	v_mul_f64 v[116:117], v[116:117], s[14:15]
	v_fma_f64 v[164:165], s[0:1], v[86:87], v[118:119]
	v_fma_f64 v[86:87], v[86:87], s[0:1], -v[118:119]
	v_add_f64 v[2:3], v[254:255], v[2:3]
	v_add_f64 v[0:1], v[252:253], v[0:1]
	v_mul_f64 v[114:115], v[114:115], s[18:19]
	v_fma_f64 v[162:163], s[8:9], v[84:85], v[116:117]
	v_fma_f64 v[84:85], v[84:85], s[8:9], -v[116:117]
	v_add_f64 v[86:87], v[86:87], v[250:251]
	v_add_f64 v[2:3], v[10:11], v[2:3]
	;; [unrolled: 1-line block ×3, first 2 shown]
	v_mul_f64 v[112:113], v[112:113], s[22:23]
	v_fma_f64 v[160:161], s[12:13], v[82:83], v[114:115]
	v_fma_f64 v[82:83], v[82:83], s[12:13], -v[114:115]
	v_add_f64 v[84:85], v[84:85], v[86:87]
	v_add_f64 v[2:3], v[14:15], v[2:3]
	;; [unrolled: 1-line block ×3, first 2 shown]
	v_fmac_f64_e32 v[156:157], s[12:13], v[90:91]
	v_mul_f64 v[110:111], v[110:111], s[26:27]
	v_fma_f64 v[158:159], s[16:17], v[80:81], v[112:113]
	v_fma_f64 v[80:81], v[80:81], s[16:17], -v[112:113]
	v_add_f64 v[82:83], v[82:83], v[84:85]
	v_add_f64 v[2:3], v[18:19], v[2:3]
	v_add_f64 v[0:1], v[16:17], v[0:1]
	v_fmac_f64_e32 v[152:153], s[0:1], v[88:89]
	v_add_f64 v[142:143], v[156:157], v[142:143]
	v_mul_f64 v[108:109], v[108:109], s[34:35]
	v_fma_f64 v[156:157], s[20:21], v[78:79], v[110:111]
	v_fma_f64 v[78:79], v[78:79], s[20:21], -v[110:111]
	v_add_f64 v[80:81], v[80:81], v[82:83]
	v_add_f64 v[2:3], v[218:219], v[2:3]
	;; [unrolled: 1-line block ×4, first 2 shown]
	v_mul_f64 v[152:153], v[94:95], s[38:39]
	v_fma_f64 v[154:155], s[24:25], v[76:77], v[108:109]
	v_fma_f64 v[76:77], v[76:77], s[24:25], -v[108:109]
	v_add_f64 v[78:79], v[78:79], v[80:81]
	v_add_f64 v[2:3], v[226:227], v[2:3]
	;; [unrolled: 1-line block ×3, first 2 shown]
	v_mul_f64 v[146:147], v[92:93], s[42:43]
	v_fma_f64 v[94:95], s[28:29], v[74:75], v[152:153]
	v_mul_f64 v[134:135], v[134:135], s[10:11]
	v_fma_f64 v[74:75], v[74:75], s[28:29], -v[152:153]
	v_add_f64 v[76:77], v[76:77], v[78:79]
	v_add_f64 v[2:3], v[230:231], v[2:3]
	;; [unrolled: 1-line block ×3, first 2 shown]
	v_fma_f64 v[92:93], s[36:37], v[72:73], v[146:147]
	v_add_f64 v[164:165], v[164:165], v[250:251]
	v_mul_f64 v[132:133], v[132:133], s[14:15]
	v_fma_f64 v[166:167], v[106:107], s[0:1], -v[134:135]
	v_fma_f64 v[72:73], v[72:73], s[36:37], -v[146:147]
	v_add_f64 v[74:75], v[74:75], v[76:77]
	v_fmac_f64_e32 v[134:135], s[0:1], v[106:107]
	v_add_f64 v[2:3], v[222:223], v[2:3]
	v_add_f64 v[0:1], v[220:221], v[0:1]
	;; [unrolled: 1-line block ×3, first 2 shown]
	v_mul_f64 v[130:131], v[130:131], s[18:19]
	v_fma_f64 v[164:165], v[104:105], s[8:9], -v[132:133]
	v_add_f64 v[166:167], v[166:167], v[248:249]
	v_add_f64 v[74:75], v[72:73], v[74:75]
	v_fmac_f64_e32 v[132:133], s[8:9], v[104:105]
	v_add_f64 v[72:73], v[134:135], v[248:249]
	v_add_f64 v[2:3], v[214:215], v[2:3]
	v_add_f64 v[0:1], v[212:213], v[0:1]
	v_add_f64 v[160:161], v[160:161], v[162:163]
	v_mul_f64 v[128:129], v[128:129], s[22:23]
	v_fma_f64 v[162:163], v[102:103], s[12:13], -v[130:131]
	v_add_f64 v[164:165], v[166:167], v[164:165]
	v_fmac_f64_e32 v[130:131], s[12:13], v[102:103]
	v_add_f64 v[72:73], v[72:73], v[132:133]
	v_add_f64 v[2:3], v[210:211], v[2:3]
	v_add_f64 v[0:1], v[208:209], v[0:1]
	v_add_f64 v[158:159], v[158:159], v[160:161]
	v_mul_f64 v[126:127], v[126:127], s[26:27]
	v_fma_f64 v[160:161], v[100:101], s[16:17], -v[128:129]
	;; [unrolled: 8-line block ×4, first 2 shown]
	v_add_f64 v[158:159], v[158:159], v[160:161]
	v_fmac_f64_e32 v[124:125], s[24:25], v[96:97]
	v_add_f64 v[72:73], v[126:127], v[72:73]
	v_add_f64 v[2:3], v[198:199], v[2:3]
	;; [unrolled: 1-line block ×3, first 2 shown]
	v_accvgpr_read_b32 v189, a99
	v_accvgpr_read_b32 v185, a95
	;; [unrolled: 1-line block ×4, first 2 shown]
	v_add_f64 v[94:95], v[94:95], v[154:155]
	v_mul_f64 v[120:121], v[120:121], s[42:43]
	v_fma_f64 v[154:155], v[90:91], s[28:29], -v[122:123]
	v_add_f64 v[156:157], v[156:157], v[158:159]
	v_fmac_f64_e32 v[122:123], s[28:29], v[90:91]
	v_add_f64 v[72:73], v[124:125], v[72:73]
	v_add_f64 v[2:3], v[194:195], v[2:3]
	v_accvgpr_read_b32 v217, a127
	v_accvgpr_read_b32 v225, a139
	;; [unrolled: 1-line block ×9, first 2 shown]
	v_add_f64 v[0:1], v[192:193], v[0:1]
	v_accvgpr_read_b32 v193, a103
	v_accvgpr_read_b32 v4, a3
	;; [unrolled: 1-line block ×18, first 2 shown]
	v_add_f64 v[94:95], v[92:93], v[94:95]
	v_fma_f64 v[92:93], v[88:89], s[36:37], -v[120:121]
	v_accvgpr_read_b32 v167, a80
	v_accvgpr_read_b32 v166, a79
	;; [unrolled: 1-line block ×4, first 2 shown]
	v_add_f64 v[154:155], v[154:155], v[156:157]
	v_fmac_f64_e32 v[120:121], s[36:37], v[88:89]
	v_add_f64 v[72:73], v[122:123], v[72:73]
	v_accvgpr_read_b32 v216, a126
	v_accvgpr_read_b32 v215, a125
	;; [unrolled: 1-line block ×30, first 2 shown]
	v_lshl_add_u32 v4, v141, 4, v4
	v_accvgpr_read_b32 v141, a82
	v_add_f64 v[92:93], v[92:93], v[154:155]
	v_add_f64 v[72:73], v[120:121], v[72:73]
	ds_write_b128 v4, v[0:3]
	ds_write_b128 v4, v[72:75] offset:16
	ds_write_b128 v4, v[142:145] offset:32
	;; [unrolled: 1-line block ×16, first 2 shown]
.LBB0_13:
	s_or_b64 exec, exec, s[56:57]
	s_waitcnt lgkmcnt(0)
	; wave barrier
	s_waitcnt lgkmcnt(0)
	ds_read_b128 v[0:3], v140 offset:2176
	ds_read_b128 v[4:7], v140 offset:2448
	;; [unrolled: 1-line block ×4, first 2 shown]
	s_mov_b32 s0, 0xe8584caa
	s_waitcnt lgkmcnt(3)
	v_mul_f64 v[64:65], v[150:151], v[2:3]
	v_fmac_f64_e32 v[64:65], v[148:149], v[0:1]
	v_mul_f64 v[0:1], v[150:151], v[0:1]
	s_waitcnt lgkmcnt(1)
	v_mul_f64 v[96:97], v[138:139], v[10:11]
	v_fma_f64 v[66:67], v[148:149], v[2:3], -v[0:1]
	v_mul_f64 v[36:37], v[150:151], v[6:7]
	v_mul_f64 v[0:1], v[150:151], v[4:5]
	v_fmac_f64_e32 v[96:97], v[136:137], v[8:9]
	v_mul_f64 v[8:9], v[138:139], v[8:9]
	v_fmac_f64_e32 v[36:37], v[148:149], v[4:5]
	v_fma_f64 v[40:41], v[148:149], v[6:7], -v[0:1]
	ds_read_b128 v[0:3], v140 offset:2720
	ds_read_b128 v[4:7], v140 offset:2992
	v_fma_f64 v[98:99], v[136:137], v[10:11], -v[8:9]
	s_waitcnt lgkmcnt(2)
	v_mul_f64 v[8:9], v[138:139], v[12:13]
	v_fma_f64 v[62:63], v[136:137], v[14:15], -v[8:9]
	ds_read_b128 v[8:11], v140 offset:4896
	s_waitcnt lgkmcnt(2)
	v_mul_f64 v[38:39], v[228:229], v[2:3]
	v_fmac_f64_e32 v[38:39], v[226:227], v[0:1]
	v_mul_f64 v[0:1], v[228:229], v[0:1]
	v_fma_f64 v[46:47], v[226:227], v[2:3], -v[0:1]
	ds_read_b128 v[0:3], v140 offset:5168
	s_waitcnt lgkmcnt(1)
	v_mul_f64 v[56:57], v[220:221], v[10:11]
	v_fmac_f64_e32 v[56:57], v[218:219], v[8:9]
	v_mul_f64 v[8:9], v[220:221], v[8:9]
	v_fma_f64 v[60:61], v[218:219], v[10:11], -v[8:9]
	v_accvgpr_read_b32 v8, a152
	v_mul_f64 v[44:45], v[138:139], v[14:15]
	v_accvgpr_read_b32 v10, a154
	v_accvgpr_read_b32 v11, a155
	v_fmac_f64_e32 v[44:45], v[136:137], v[12:13]
	v_accvgpr_read_b32 v9, a153
	v_mul_f64 v[42:43], v[10:11], v[6:7]
	v_accvgpr_read_b32 v12, a144
	v_fmac_f64_e32 v[42:43], v[8:9], v[4:5]
	v_mul_f64 v[4:5], v[10:11], v[4:5]
	v_accvgpr_read_b32 v14, a146
	v_accvgpr_read_b32 v15, a147
	v_fma_f64 v[52:53], v[8:9], v[6:7], -v[4:5]
	ds_read_b128 v[4:7], v140 offset:3264
	ds_read_b128 v[8:11], v140 offset:3536
	v_accvgpr_read_b32 v13, a145
	s_waitcnt lgkmcnt(2)
	v_mul_f64 v[58:59], v[14:15], v[2:3]
	v_fmac_f64_e32 v[58:59], v[12:13], v[0:1]
	v_mul_f64 v[0:1], v[14:15], v[0:1]
	v_fma_f64 v[88:89], v[12:13], v[2:3], -v[0:1]
	v_accvgpr_read_b32 v12, a164
	v_accvgpr_read_b32 v14, a166
	;; [unrolled: 1-line block ×3, first 2 shown]
	ds_read_b128 v[0:3], v140 offset:5440
	v_accvgpr_read_b32 v13, a165
	s_waitcnt lgkmcnt(2)
	v_mul_f64 v[48:49], v[14:15], v[6:7]
	v_fmac_f64_e32 v[48:49], v[12:13], v[4:5]
	v_mul_f64 v[4:5], v[14:15], v[4:5]
	v_fma_f64 v[54:55], v[12:13], v[6:7], -v[4:5]
	ds_read_b128 v[4:7], v140 offset:5712
	v_accvgpr_read_b32 v12, a156
	v_accvgpr_read_b32 v14, a158
	;; [unrolled: 1-line block ×4, first 2 shown]
	s_waitcnt lgkmcnt(1)
	v_mul_f64 v[82:83], v[14:15], v[2:3]
	v_fmac_f64_e32 v[82:83], v[12:13], v[0:1]
	v_mul_f64 v[0:1], v[14:15], v[0:1]
	v_fma_f64 v[90:91], v[12:13], v[2:3], -v[0:1]
	v_accvgpr_read_b32 v12, a184
	v_accvgpr_read_b32 v14, a186
	;; [unrolled: 1-line block ×4, first 2 shown]
	v_mul_f64 v[50:51], v[14:15], v[10:11]
	v_mul_f64 v[0:1], v[14:15], v[8:9]
	v_fmac_f64_e32 v[50:51], v[12:13], v[8:9]
	v_fma_f64 v[78:79], v[12:13], v[10:11], -v[0:1]
	v_accvgpr_read_b32 v12, a180
	v_accvgpr_read_b32 v14, a182
	;; [unrolled: 1-line block ×3, first 2 shown]
	ds_read_b128 v[0:3], v140 offset:3808
	ds_read_b128 v[8:11], v140 offset:4080
	v_accvgpr_read_b32 v13, a181
	s_waitcnt lgkmcnt(2)
	v_mul_f64 v[84:85], v[14:15], v[6:7]
	v_fmac_f64_e32 v[84:85], v[12:13], v[4:5]
	v_mul_f64 v[4:5], v[14:15], v[4:5]
	v_fma_f64 v[92:93], v[12:13], v[6:7], -v[4:5]
	v_accvgpr_read_b32 v12, a196
	v_accvgpr_read_b32 v14, a198
	;; [unrolled: 1-line block ×4, first 2 shown]
	s_waitcnt lgkmcnt(1)
	v_mul_f64 v[76:77], v[14:15], v[2:3]
	v_fmac_f64_e32 v[76:77], v[12:13], v[0:1]
	v_mul_f64 v[0:1], v[14:15], v[0:1]
	ds_read_b128 v[4:7], v140 offset:5984
	v_fma_f64 v[80:81], v[12:13], v[2:3], -v[0:1]
	ds_read_b128 v[0:3], v140 offset:6256
	ds_read_b128 v[28:31], v140
	ds_read_b128 v[24:27], v140 offset:272
	v_accvgpr_read_b32 v12, a188
	v_accvgpr_read_b32 v14, a190
	v_accvgpr_read_b32 v15, a191
	s_waitcnt lgkmcnt(2)
	v_mul_f64 v[72:73], v[242:243], v[2:3]
	v_fmac_f64_e32 v[72:73], v[240:241], v[0:1]
	v_mul_f64 v[0:1], v[242:243], v[0:1]
	v_accvgpr_read_b32 v13, a189
	v_mul_f64 v[86:87], v[14:15], v[6:7]
	v_fma_f64 v[74:75], v[240:241], v[2:3], -v[0:1]
	s_waitcnt lgkmcnt(1)
	v_add_f64 v[0:1], v[28:29], v[64:65]
	v_fmac_f64_e32 v[86:87], v[12:13], v[4:5]
	v_mul_f64 v[4:5], v[14:15], v[4:5]
	v_add_f64 v[32:33], v[0:1], v[96:97]
	v_add_f64 v[0:1], v[30:31], v[66:67]
	v_fma_f64 v[94:95], v[12:13], v[6:7], -v[4:5]
	v_mul_f64 v[70:71], v[246:247], v[10:11]
	v_mul_f64 v[4:5], v[246:247], v[8:9]
	v_add_f64 v[34:35], v[0:1], v[98:99]
	v_fmac_f64_e32 v[70:71], v[244:245], v[8:9]
	v_fma_f64 v[68:69], v[244:245], v[10:11], -v[4:5]
	ds_read_b128 v[20:23], v140 offset:544
	ds_read_b128 v[16:19], v140 offset:816
	ds_read_b128 v[12:15], v140 offset:1088
	ds_read_b128 v[8:11], v140 offset:1360
	ds_read_b128 v[4:7], v140 offset:1632
	ds_read_b128 v[0:3], v140 offset:1904
	s_waitcnt lgkmcnt(0)
	; wave barrier
	s_waitcnt lgkmcnt(0)
	ds_write_b128 v140, v[32:35]
	v_add_f64 v[32:33], v[64:65], v[96:97]
	v_fmac_f64_e32 v[28:29], -0.5, v[32:33]
	v_add_f64 v[32:33], v[66:67], v[98:99]
	v_add_f64 v[100:101], v[66:67], -v[98:99]
	v_fmac_f64_e32 v[30:31], -0.5, v[32:33]
	v_add_f64 v[64:65], v[64:65], -v[96:97]
	s_mov_b32 s1, 0xbfebb67a
	s_mov_b32 s9, 0x3febb67a
	;; [unrolled: 1-line block ×3, first 2 shown]
	v_fma_f64 v[32:33], s[0:1], v[100:101], v[28:29]
	v_fma_f64 v[34:35], s[8:9], v[64:65], v[30:31]
	v_fmac_f64_e32 v[28:29], s[8:9], v[100:101]
	v_fmac_f64_e32 v[30:31], s[0:1], v[64:65]
	ds_write_b128 v140, v[28:31] offset:544
	v_add_f64 v[28:29], v[24:25], v[36:37]
	v_add_f64 v[30:31], v[26:27], v[40:41]
	;; [unrolled: 1-line block ×4, first 2 shown]
	ds_write_b128 v140, v[28:31] offset:816
	v_add_f64 v[28:29], v[36:37], v[44:45]
	v_fmac_f64_e32 v[24:25], -0.5, v[28:29]
	v_add_f64 v[28:29], v[40:41], -v[62:63]
	v_fma_f64 v[96:97], s[0:1], v[28:29], v[24:25]
	v_fmac_f64_e32 v[24:25], s[8:9], v[28:29]
	v_add_f64 v[28:29], v[40:41], v[62:63]
	v_fmac_f64_e32 v[26:27], -0.5, v[28:29]
	v_add_f64 v[28:29], v[36:37], -v[44:45]
	v_fma_f64 v[98:99], s[8:9], v[28:29], v[26:27]
	v_fmac_f64_e32 v[26:27], s[0:1], v[28:29]
	v_add_f64 v[28:29], v[20:21], v[38:39]
	v_add_f64 v[64:65], v[28:29], v[56:57]
	;; [unrolled: 1-line block ×6, first 2 shown]
	v_fmac_f64_e32 v[22:23], -0.5, v[28:29]
	v_add_f64 v[28:29], v[38:39], -v[56:57]
	v_fmac_f64_e32 v[20:21], -0.5, v[30:31]
	v_add_f64 v[30:31], v[46:47], -v[60:61]
	v_fma_f64 v[46:47], s[8:9], v[28:29], v[22:23]
	v_fmac_f64_e32 v[22:23], s[0:1], v[28:29]
	v_add_f64 v[28:29], v[16:17], v[42:43]
	v_add_f64 v[60:61], v[28:29], v[58:59]
	;; [unrolled: 1-line block ×5, first 2 shown]
	v_fmac_f64_e32 v[18:19], -0.5, v[28:29]
	v_add_f64 v[28:29], v[42:43], -v[58:59]
	v_fma_f64 v[44:45], s[0:1], v[30:31], v[20:21]
	v_fmac_f64_e32 v[20:21], s[8:9], v[30:31]
	v_add_f64 v[30:31], v[42:43], v[58:59]
	v_fma_f64 v[42:43], s[8:9], v[28:29], v[18:19]
	v_fmac_f64_e32 v[18:19], s[0:1], v[28:29]
	v_add_f64 v[28:29], v[12:13], v[48:49]
	v_add_f64 v[56:57], v[28:29], v[82:83]
	;; [unrolled: 1-line block ×5, first 2 shown]
	v_fmac_f64_e32 v[14:15], -0.5, v[28:29]
	v_add_f64 v[28:29], v[48:49], -v[82:83]
	v_fmac_f64_e32 v[16:17], -0.5, v[30:31]
	v_add_f64 v[30:31], v[52:53], -v[88:89]
	v_fma_f64 v[38:39], s[8:9], v[28:29], v[14:15]
	v_fmac_f64_e32 v[14:15], s[0:1], v[28:29]
	v_add_f64 v[28:29], v[8:9], v[50:51]
	v_fma_f64 v[40:41], s[0:1], v[30:31], v[16:17]
	v_fmac_f64_e32 v[16:17], s[8:9], v[30:31]
	v_add_f64 v[30:31], v[48:49], v[82:83]
	v_add_f64 v[52:53], v[28:29], v[84:85]
	;; [unrolled: 1-line block ×3, first 2 shown]
	v_fmac_f64_e32 v[12:13], -0.5, v[30:31]
	v_add_f64 v[30:31], v[54:55], -v[90:91]
	v_add_f64 v[54:55], v[28:29], v[92:93]
	v_add_f64 v[28:29], v[78:79], v[92:93]
	v_fma_f64 v[36:37], s[0:1], v[30:31], v[12:13]
	v_fmac_f64_e32 v[12:13], s[8:9], v[30:31]
	v_add_f64 v[30:31], v[50:51], v[84:85]
	v_fmac_f64_e32 v[10:11], -0.5, v[28:29]
	v_add_f64 v[28:29], v[50:51], -v[84:85]
	ds_write_b128 v140, v[32:35] offset:272
	v_fmac_f64_e32 v[8:9], -0.5, v[30:31]
	v_add_f64 v[30:31], v[78:79], -v[92:93]
	v_fma_f64 v[34:35], s[8:9], v[28:29], v[10:11]
	v_fmac_f64_e32 v[10:11], s[0:1], v[28:29]
	v_add_f64 v[28:29], v[76:77], v[86:87]
	v_fma_f64 v[32:33], s[0:1], v[30:31], v[8:9]
	v_fmac_f64_e32 v[8:9], s[8:9], v[30:31]
	v_add_f64 v[30:31], v[4:5], v[76:77]
	v_fmac_f64_e32 v[4:5], -0.5, v[28:29]
	v_add_f64 v[48:49], v[80:81], -v[94:95]
	v_fma_f64 v[28:29], s[0:1], v[48:49], v[4:5]
	v_fmac_f64_e32 v[4:5], s[8:9], v[48:49]
	v_add_f64 v[48:49], v[30:31], v[86:87]
	v_add_f64 v[30:31], v[6:7], v[80:81]
	;; [unrolled: 1-line block ×4, first 2 shown]
	v_fmac_f64_e32 v[6:7], -0.5, v[30:31]
	v_add_f64 v[76:77], v[76:77], -v[86:87]
	v_fma_f64 v[30:31], s[8:9], v[76:77], v[6:7]
	v_fmac_f64_e32 v[6:7], s[0:1], v[76:77]
	v_add_f64 v[76:77], v[70:71], v[72:73]
	v_add_f64 v[78:79], v[0:1], v[70:71]
	v_fmac_f64_e32 v[0:1], -0.5, v[76:77]
	v_add_f64 v[80:81], v[68:69], -v[74:75]
	v_fma_f64 v[76:77], s[0:1], v[80:81], v[0:1]
	v_fmac_f64_e32 v[0:1], s[8:9], v[80:81]
	v_add_f64 v[80:81], v[78:79], v[72:73]
	v_add_f64 v[78:79], v[2:3], v[68:69]
	;; [unrolled: 1-line block ×3, first 2 shown]
	v_fmac_f64_e32 v[2:3], -0.5, v[68:69]
	v_add_f64 v[72:73], v[70:71], -v[72:73]
	v_add_f64 v[82:83], v[78:79], v[74:75]
	v_fma_f64 v[78:79], s[8:9], v[72:73], v[2:3]
	v_fmac_f64_e32 v[2:3], s[0:1], v[72:73]
	ds_write_b128 v140, v[96:99] offset:1088
	ds_write_b128 v140, v[24:27] offset:1360
	;; [unrolled: 1-line block ×20, first 2 shown]
	s_waitcnt lgkmcnt(0)
	; wave barrier
	s_waitcnt lgkmcnt(0)
	ds_read_b128 v[8:11], v140
	ds_read_b128 v[4:7], v140 offset:272
	ds_read_b128 v[12:15], v140 offset:1632
	;; [unrolled: 1-line block ×17, first 2 shown]
	s_waitcnt lgkmcnt(14)
	v_mul_f64 v[86:87], v[184:185], v[14:15]
	s_waitcnt lgkmcnt(9)
	v_mul_f64 v[82:83], v[188:189], v[38:39]
	v_fmac_f64_e32 v[86:87], v[182:183], v[12:13]
	v_mul_f64 v[12:13], v[184:185], v[12:13]
	v_fmac_f64_e32 v[82:83], v[186:187], v[36:37]
	v_mul_f64 v[36:37], v[188:189], v[36:37]
	v_fma_f64 v[88:89], v[182:183], v[14:15], -v[12:13]
	s_waitcnt lgkmcnt(5)
	v_mul_f64 v[90:91], v[180:181], v[50:51]
	v_mul_f64 v[12:13], v[180:181], v[48:49]
	v_fma_f64 v[84:85], v[186:187], v[38:39], -v[36:37]
	ds_read_b128 v[36:39], v140 offset:4352
	ds_read_b128 v[78:81], v140 offset:4624
	v_fmac_f64_e32 v[90:91], v[178:179], v[48:49]
	v_fma_f64 v[92:93], v[178:179], v[50:51], -v[12:13]
	ds_read_b128 v[12:15], v140 offset:5712
	ds_read_b128 v[48:51], v140 offset:5440
	v_mul_f64 v[102:103], v[196:197], v[30:31]
	v_fmac_f64_e32 v[102:103], v[194:195], v[28:29]
	v_mul_f64 v[28:29], v[196:197], v[28:29]
	v_fma_f64 v[28:29], v[194:195], v[30:31], -v[28:29]
	s_waitcnt lgkmcnt(1)
	v_mul_f64 v[30:31], v[192:193], v[14:15]
	v_fmac_f64_e32 v[30:31], v[190:191], v[12:13]
	v_mul_f64 v[12:13], v[192:193], v[12:13]
	v_fma_f64 v[12:13], v[190:191], v[14:15], -v[12:13]
	v_mul_f64 v[104:105], v[216:217], v[42:43]
	v_mul_f64 v[14:15], v[216:217], v[40:41]
	v_fmac_f64_e32 v[104:105], v[214:215], v[40:41]
	v_fma_f64 v[40:41], v[214:215], v[42:43], -v[14:15]
	v_mul_f64 v[42:43], v[212:213], v[18:19]
	v_mul_f64 v[14:15], v[212:213], v[16:17]
	v_mul_f64 v[94:95], v[172:173], v[22:23]
	v_fmac_f64_e32 v[42:43], v[210:211], v[16:17]
	v_fma_f64 v[106:107], v[210:211], v[18:19], -v[14:15]
	v_mul_f64 v[108:109], v[208:209], v[58:59]
	v_mul_f64 v[14:15], v[208:209], v[56:57]
	v_accvgpr_read_b32 v16, a148
	v_fmac_f64_e32 v[94:95], v[170:171], v[20:21]
	v_mul_f64 v[20:21], v[172:173], v[20:21]
	v_fmac_f64_e32 v[108:109], v[206:207], v[56:57]
	v_fma_f64 v[56:57], v[206:207], v[58:59], -v[14:15]
	v_mul_f64 v[14:15], v[204:205], v[24:25]
	v_accvgpr_read_b32 v18, a150
	v_accvgpr_read_b32 v19, a151
	v_fma_f64 v[96:97], v[170:171], v[22:23], -v[20:21]
	v_mul_f64 v[98:99], v[200:201], v[66:67]
	v_mul_f64 v[20:21], v[200:201], v[64:65]
	v_fma_f64 v[110:111], v[202:203], v[26:27], -v[14:15]
	v_accvgpr_read_b32 v17, a149
	v_mul_f64 v[112:113], v[18:19], v[38:39]
	v_mul_f64 v[14:15], v[18:19], v[36:37]
	v_fmac_f64_e32 v[98:99], v[198:199], v[64:65]
	v_fma_f64 v[100:101], v[198:199], v[66:67], -v[20:21]
	ds_read_b128 v[20:23], v140 offset:5984
	ds_read_b128 v[64:67], v140 offset:6256
	v_fmac_f64_e32 v[112:113], v[16:17], v[36:37]
	v_fma_f64 v[114:115], v[16:17], v[38:39], -v[14:15]
	v_accvgpr_read_b32 v16, a140
	v_accvgpr_read_b32 v18, a142
	v_accvgpr_read_b32 v19, a143
	v_accvgpr_read_b32 v17, a141
	v_mul_f64 v[116:117], v[18:19], v[34:35]
	v_mul_f64 v[14:15], v[18:19], v[32:33]
	v_fmac_f64_e32 v[116:117], v[16:17], v[32:33]
	v_fma_f64 v[118:119], v[16:17], v[34:35], -v[14:15]
	v_accvgpr_read_b32 v16, a176
	s_waitcnt lgkmcnt(1)
	v_mul_f64 v[14:15], v[224:225], v[20:21]
	v_accvgpr_read_b32 v18, a178
	v_accvgpr_read_b32 v19, a179
	v_fma_f64 v[122:123], v[222:223], v[22:23], -v[14:15]
	v_accvgpr_read_b32 v17, a177
	v_mul_f64 v[124:125], v[18:19], v[46:47]
	v_mul_f64 v[14:15], v[18:19], v[44:45]
	v_fmac_f64_e32 v[124:125], v[16:17], v[44:45]
	v_fma_f64 v[126:127], v[16:17], v[46:47], -v[14:15]
	v_accvgpr_read_b32 v16, a168
	v_accvgpr_read_b32 v18, a170
	v_accvgpr_read_b32 v19, a171
	v_accvgpr_read_b32 v17, a169
	v_mul_f64 v[128:129], v[18:19], v[54:55]
	v_mul_f64 v[14:15], v[18:19], v[52:53]
	v_fmac_f64_e32 v[128:129], v[16:17], v[52:53]
	v_fma_f64 v[130:131], v[16:17], v[54:55], -v[14:15]
	v_accvgpr_read_b32 v16, a172
	v_accvgpr_read_b32 v18, a174
	v_accvgpr_read_b32 v19, a175
	;; [unrolled: 8-line block ×3, first 2 shown]
	v_accvgpr_read_b32 v17, a161
	v_mul_f64 v[136:137], v[18:19], v[76:77]
	v_mul_f64 v[14:15], v[18:19], v[74:75]
	v_fmac_f64_e32 v[136:137], v[16:17], v[74:75]
	v_fma_f64 v[74:75], v[16:17], v[76:77], -v[14:15]
	v_accvgpr_read_b32 v16, a192
	v_mul_f64 v[76:77], v[238:239], v[80:81]
	v_mul_f64 v[14:15], v[238:239], v[78:79]
	v_accvgpr_read_b32 v18, a194
	v_accvgpr_read_b32 v19, a195
	v_mul_f64 v[120:121], v[224:225], v[22:23]
	v_fmac_f64_e32 v[76:77], v[236:237], v[78:79]
	v_fma_f64 v[78:79], v[236:237], v[80:81], -v[14:15]
	v_accvgpr_read_b32 v17, a193
	v_mul_f64 v[80:81], v[18:19], v[50:51]
	v_mul_f64 v[14:15], v[18:19], v[48:49]
	;; [unrolled: 1-line block ×3, first 2 shown]
	v_fmac_f64_e32 v[120:121], v[222:223], v[20:21]
	v_fmac_f64_e32 v[80:81], v[16:17], v[48:49]
	v_fma_f64 v[138:139], v[16:17], v[50:51], -v[14:15]
	s_waitcnt lgkmcnt(0)
	v_mul_f64 v[14:15], v[234:235], v[64:65]
	v_add_f64 v[16:17], v[10:11], -v[96:97]
	v_add_f64 v[20:21], v[88:89], -v[28:29]
	v_add_f64 v[28:29], v[84:85], -v[100:101]
	v_add_f64 v[12:13], v[92:93], -v[12:13]
	v_accvgpr_read_b32 v146, a4
	v_fmac_f64_e32 v[58:59], v[202:203], v[24:25]
	v_fma_f64 v[144:145], v[232:233], v[66:67], -v[14:15]
	v_add_f64 v[14:15], v[8:9], -v[94:95]
	v_fma_f64 v[10:11], v[10:11], 2.0, -v[16:17]
	v_add_f64 v[18:19], v[86:87], -v[102:103]
	v_fma_f64 v[24:25], v[88:89], 2.0, -v[20:21]
	;; [unrolled: 2-line block ×4, first 2 shown]
	v_mov_b32_e32 v68, s2
	v_mov_b32_e32 v69, s3
	v_mad_u64_u32 v[70:71], s[2:3], s6, v146, 0
	v_fma_f64 v[8:9], v[8:9], 2.0, -v[14:15]
	v_fma_f64 v[22:23], v[86:87], 2.0, -v[18:19]
	;; [unrolled: 1-line block ×4, first 2 shown]
	v_add_f64 v[46:47], v[10:11], -v[24:25]
	v_add_f64 v[50:51], v[16:17], -v[18:19]
	;; [unrolled: 1-line block ×4, first 2 shown]
	s_mov_b32 s0, 0x667f3bcd
	v_add_f64 v[44:45], v[8:9], -v[22:23]
	v_fma_f64 v[24:25], v[10:11], 2.0, -v[46:47]
	v_add_f64 v[48:49], v[14:15], v[20:21]
	v_fma_f64 v[52:53], v[16:17], 2.0, -v[50:51]
	v_add_f64 v[36:37], v[32:33], -v[36:37]
	v_fma_f64 v[10:11], v[34:35], 2.0, -v[38:39]
	v_add_f64 v[54:55], v[26:27], v[12:13]
	v_fma_f64 v[28:29], v[28:29], 2.0, -v[60:61]
	s_mov_b32 s1, 0xbfe6a09e
	s_mov_b32 s3, 0x3fe6a09e
	;; [unrolled: 1-line block ×3, first 2 shown]
	v_fma_f64 v[22:23], v[8:9], 2.0, -v[44:45]
	v_fma_f64 v[20:21], v[14:15], 2.0, -v[48:49]
	;; [unrolled: 1-line block ×4, first 2 shown]
	v_add_f64 v[10:11], v[24:25], -v[10:11]
	v_fma_f64 v[18:19], s[0:1], v[28:29], v[52:53]
	v_fma_f64 v[32:33], s[2:3], v[54:55], v[48:49]
	;; [unrolled: 1-line block ×3, first 2 shown]
	v_mul_f64 v[142:143], v[234:235], v[66:67]
	v_fma_f64 v[14:15], v[24:25], 2.0, -v[10:11]
	v_fma_f64 v[16:17], s[0:1], v[26:27], v[20:21]
	v_fmac_f64_e32 v[18:19], s[0:1], v[26:27]
	v_add_f64 v[24:25], v[44:45], v[38:39]
	v_add_f64 v[26:27], v[46:47], -v[36:37]
	v_fmac_f64_e32 v[32:33], s[2:3], v[60:61]
	v_fmac_f64_e32 v[34:35], s[0:1], v[54:55]
	;; [unrolled: 1-line block ×3, first 2 shown]
	v_add_f64 v[8:9], v[22:23], -v[8:9]
	v_fmac_f64_e32 v[16:17], s[2:3], v[28:29]
	v_fma_f64 v[28:29], v[44:45], 2.0, -v[24:25]
	v_fma_f64 v[30:31], v[46:47], 2.0, -v[26:27]
	;; [unrolled: 1-line block ×4, first 2 shown]
	v_add_f64 v[44:45], v[4:5], -v[58:59]
	v_add_f64 v[46:47], v[6:7], -v[110:111]
	;; [unrolled: 1-line block ×8, first 2 shown]
	v_fma_f64 v[12:13], v[22:23], 2.0, -v[8:9]
	v_fma_f64 v[22:23], v[52:53], 2.0, -v[18:19]
	;; [unrolled: 1-line block ×10, first 2 shown]
	v_add_f64 v[82:83], v[4:5], -v[42:43]
	v_add_f64 v[84:85], v[6:7], -v[52:53]
	;; [unrolled: 1-line block ×6, first 2 shown]
	v_fma_f64 v[42:43], v[4:5], 2.0, -v[82:83]
	v_fma_f64 v[52:53], v[6:7], 2.0, -v[84:85]
	v_add_f64 v[86:87], v[44:45], v[50:51]
	v_fma_f64 v[50:51], v[46:47], 2.0, -v[88:89]
	v_fma_f64 v[4:5], v[60:61], 2.0, -v[66:67]
	v_fma_f64 v[6:7], v[40:41], 2.0, -v[56:57]
	v_add_f64 v[64:65], v[54:55], v[64:65]
	v_fma_f64 v[58:59], v[58:59], 2.0, -v[90:91]
	v_fma_f64 v[48:49], v[44:45], 2.0, -v[86:87]
	;; [unrolled: 1-line block ×3, first 2 shown]
	v_add_f64 v[4:5], v[42:43], -v[4:5]
	v_add_f64 v[6:7], v[52:53], -v[6:7]
	v_fma_f64 v[46:47], s[0:1], v[58:59], v[50:51]
	v_fma_f64 v[40:41], v[42:43], 2.0, -v[4:5]
	v_fma_f64 v[42:43], v[52:53], 2.0, -v[6:7]
	v_fma_f64 v[44:45], s[0:1], v[54:55], v[48:49]
	v_fmac_f64_e32 v[46:47], s[0:1], v[54:55]
	v_add_f64 v[52:53], v[82:83], v[56:57]
	v_add_f64 v[54:55], v[84:85], -v[66:67]
	v_fma_f64 v[60:61], s[2:3], v[64:65], v[86:87]
	v_fma_f64 v[62:63], s[2:3], v[90:91], v[88:89]
	v_fmac_f64_e32 v[44:45], s[2:3], v[58:59]
	v_fma_f64 v[56:57], v[82:83], 2.0, -v[52:53]
	v_fma_f64 v[58:59], v[84:85], 2.0, -v[54:55]
	v_fmac_f64_e32 v[60:61], s[2:3], v[90:91]
	v_fmac_f64_e32 v[62:63], s[0:1], v[64:65]
	v_add_f64 v[82:83], v[0:1], -v[136:137]
	v_add_f64 v[74:75], v[2:3], -v[74:75]
	;; [unrolled: 1-line block ×8, first 2 shown]
	v_fma_f64 v[64:65], v[86:87], 2.0, -v[60:61]
	v_fma_f64 v[66:67], v[88:89], 2.0, -v[62:63]
	;; [unrolled: 1-line block ×10, first 2 shown]
	v_add_f64 v[102:103], v[0:1], -v[86:87]
	v_add_f64 v[104:105], v[2:3], -v[88:89]
	v_add_f64 v[106:107], v[82:83], v[84:85]
	v_add_f64 v[108:109], v[74:75], -v[80:81]
	v_add_f64 v[98:99], v[90:91], -v[98:99]
	;; [unrolled: 1-line block ×3, first 2 shown]
	v_add_f64 v[110:111], v[76:77], v[96:97]
	v_add_f64 v[112:113], v[78:79], -v[94:95]
	v_fma_f64 v[86:87], v[0:1], 2.0, -v[102:103]
	v_fma_f64 v[88:89], v[2:3], 2.0, -v[104:105]
	;; [unrolled: 1-line block ×8, first 2 shown]
	v_add_f64 v[0:1], v[86:87], -v[0:1]
	v_add_f64 v[2:3], v[88:89], -v[2:3]
	v_fma_f64 v[78:79], s[0:1], v[90:91], v[82:83]
	v_fma_f64 v[80:81], s[0:1], v[92:93], v[84:85]
	;; [unrolled: 1-line block ×4, first 2 shown]
	v_fma_f64 v[74:75], v[86:87], 2.0, -v[0:1]
	v_fma_f64 v[76:77], v[88:89], 2.0, -v[2:3]
	v_fmac_f64_e32 v[78:79], s[2:3], v[92:93]
	v_fmac_f64_e32 v[80:81], s[0:1], v[90:91]
	v_add_f64 v[86:87], v[102:103], v[100:101]
	v_add_f64 v[88:89], v[104:105], -v[98:99]
	v_fmac_f64_e32 v[94:95], s[2:3], v[112:113]
	v_fmac_f64_e32 v[96:97], s[0:1], v[110:111]
	v_fma_f64 v[20:21], v[20:21], 2.0, -v[16:17]
	v_fma_f64 v[48:49], v[48:49], 2.0, -v[44:45]
	v_fma_f64 v[50:51], v[50:51], 2.0, -v[46:47]
	v_fma_f64 v[82:83], v[82:83], 2.0, -v[78:79]
	v_fma_f64 v[84:85], v[84:85], 2.0, -v[80:81]
	v_fma_f64 v[90:91], v[102:103], 2.0, -v[86:87]
	v_fma_f64 v[92:93], v[104:105], 2.0, -v[88:89]
	v_fma_f64 v[98:99], v[106:107], 2.0, -v[94:95]
	v_fma_f64 v[100:101], v[108:109], 2.0, -v[96:97]
	ds_write_b128 v140, v[12:15]
	ds_write_b128 v140, v[20:23] offset:816
	ds_write_b128 v140, v[28:31] offset:1632
	ds_write_b128 v140, v[36:39] offset:2448
	ds_write_b128 v140, v[8:11] offset:3264
	ds_write_b128 v140, v[16:19] offset:4080
	ds_write_b128 v140, v[24:27] offset:4896
	ds_write_b128 v140, v[32:35] offset:5712
	ds_write_b128 v140, v[40:43] offset:272
	ds_write_b128 v174, v[48:51] offset:816
	ds_write_b128 v174, v[56:59] offset:1632
	ds_write_b128 v174, v[64:67] offset:2448
	ds_write_b128 v174, v[4:7] offset:3264
	ds_write_b128 v174, v[44:47] offset:4080
	ds_write_b128 v174, v[52:55] offset:4896
	ds_write_b128 v174, v[60:63] offset:5712
	ds_write_b128 v140, v[74:77] offset:544
	ds_write_b128 v169, v[82:85] offset:816
	ds_write_b128 v169, v[90:93] offset:1632
	ds_write_b128 v169, v[98:101] offset:2448
	ds_write_b128 v169, v[0:3] offset:3264
	ds_write_b128 v169, v[78:81] offset:4080
	ds_write_b128 v169, v[86:89] offset:4896
	ds_write_b128 v169, v[94:97] offset:5712
	s_waitcnt lgkmcnt(0)
	; wave barrier
	s_waitcnt lgkmcnt(0)
	ds_read_b128 v[0:3], v140
	v_mov_b32_e32 v72, v71
	v_accvgpr_read_b32 v13, a9
	v_mad_u64_u32 v[4:5], s[0:1], s7, v146, v[72:73]
	v_accvgpr_read_b32 v12, a8
	v_mov_b32_e32 v71, v4
	ds_read_b128 v[4:7], v140 offset:384
	v_accvgpr_read_b32 v11, a7
	v_accvgpr_read_b32 v10, a6
	s_waitcnt lgkmcnt(1)
	v_mul_f64 v[8:9], v[12:13], v[2:3]
	v_fmac_f64_e32 v[8:9], v[10:11], v[0:1]
	s_mov_b32 s0, 0x14141414
	v_mul_f64 v[0:1], v[12:13], v[0:1]
	s_mov_b32 s1, 0x3f641414
	v_fma_f64 v[0:1], v[10:11], v[2:3], -v[0:1]
	v_mad_u64_u32 v[2:3], s[2:3], s4, v176, 0
	v_mul_f64 v[10:11], v[0:1], s[0:1]
	v_mov_b32_e32 v0, v3
	v_mad_u64_u32 v[0:1], s[2:3], s5, v176, v[0:1]
	v_mov_b32_e32 v3, v0
	v_lshl_add_u64 v[0:1], v[70:71], 4, v[68:69]
	v_mul_f64 v[8:9], v[8:9], s[0:1]
	v_lshl_add_u64 v[12:13], v[2:3], 4, v[0:1]
	global_store_dwordx4 v[12:13], v[8:11], off
	s_mul_i32 s2, s5, 24
	s_mul_hi_u32 s3, s4, 24
	v_accvgpr_read_b32 v8, a72
	v_accvgpr_read_b32 v10, a74
	;; [unrolled: 1-line block ×4, first 2 shown]
	s_waitcnt lgkmcnt(0)
	v_mul_f64 v[2:3], v[10:11], v[6:7]
	v_fmac_f64_e32 v[2:3], v[8:9], v[4:5]
	v_mul_f64 v[4:5], v[10:11], v[4:5]
	v_fma_f64 v[4:5], v[8:9], v[6:7], -v[4:5]
	ds_read_b128 v[6:9], v140 offset:768
	s_add_i32 s3, s3, s2
	s_mul_i32 s2, s4, 24
	s_lshl_b64 s[2:3], s[2:3], 4
	v_accvgpr_read_b32 v16, a68
	v_mul_f64 v[2:3], v[2:3], s[0:1]
	v_mul_f64 v[4:5], v[4:5], s[0:1]
	v_lshl_add_u64 v[14:15], v[12:13], 0, s[2:3]
	v_accvgpr_read_b32 v18, a70
	v_accvgpr_read_b32 v19, a71
	global_store_dwordx4 v[14:15], v[2:5], off
	ds_read_b128 v[2:5], v140 offset:1152
	v_accvgpr_read_b32 v17, a69
	s_waitcnt lgkmcnt(1)
	v_mul_f64 v[10:11], v[18:19], v[8:9]
	v_fmac_f64_e32 v[10:11], v[16:17], v[6:7]
	v_mul_f64 v[6:7], v[18:19], v[6:7]
	v_fma_f64 v[6:7], v[16:17], v[8:9], -v[6:7]
	v_mul_f64 v[10:11], v[10:11], s[0:1]
	v_mul_f64 v[12:13], v[6:7], s[0:1]
	v_lshl_add_u64 v[14:15], v[14:15], 0, s[2:3]
	global_store_dwordx4 v[14:15], v[10:13], off
	v_accvgpr_read_b32 v8, a64
	v_accvgpr_read_b32 v9, a65
	;; [unrolled: 1-line block ×4, first 2 shown]
	s_waitcnt lgkmcnt(0)
	v_mul_f64 v[6:7], v[10:11], v[4:5]
	v_fmac_f64_e32 v[6:7], v[8:9], v[2:3]
	v_mul_f64 v[2:3], v[10:11], v[2:3]
	v_fma_f64 v[8:9], v[8:9], v[4:5], -v[2:3]
	ds_read_b128 v[2:5], v140 offset:1536
	v_accvgpr_read_b32 v16, a60
	v_mul_f64 v[6:7], v[6:7], s[0:1]
	v_mul_f64 v[8:9], v[8:9], s[0:1]
	v_lshl_add_u64 v[14:15], v[14:15], 0, s[2:3]
	v_accvgpr_read_b32 v18, a62
	v_accvgpr_read_b32 v19, a63
	global_store_dwordx4 v[14:15], v[6:9], off
	ds_read_b128 v[6:9], v140 offset:1920
	v_accvgpr_read_b32 v17, a61
	s_waitcnt lgkmcnt(1)
	v_mul_f64 v[10:11], v[18:19], v[4:5]
	v_fmac_f64_e32 v[10:11], v[16:17], v[2:3]
	v_mul_f64 v[2:3], v[18:19], v[2:3]
	v_fma_f64 v[2:3], v[16:17], v[4:5], -v[2:3]
	v_accvgpr_read_b32 v5, a34              ;  Reload Reuse
	v_mul_f64 v[12:13], v[2:3], s[0:1]
	v_mad_u64_u32 v[2:3], s[6:7], s4, v5, 0
	v_mov_b32_e32 v4, v3
	v_mad_u64_u32 v[4:5], s[6:7], s5, v5, v[4:5]
	v_mov_b32_e32 v3, v4
	v_mul_f64 v[10:11], v[10:11], s[0:1]
	v_lshl_add_u64 v[2:3], v[2:3], 4, v[0:1]
	global_store_dwordx4 v[2:3], v[10:13], off
	v_mov_b32_e32 v16, 0x300
	v_mad_u64_u32 v[14:15], s[6:7], s4, v16, v[14:15]
	v_accvgpr_read_b32 v10, a56
	v_accvgpr_read_b32 v12, a58
	;; [unrolled: 1-line block ×4, first 2 shown]
	s_waitcnt lgkmcnt(0)
	v_mul_f64 v[2:3], v[12:13], v[8:9]
	v_mul_f64 v[4:5], v[12:13], v[6:7]
	v_fmac_f64_e32 v[2:3], v[10:11], v[6:7]
	v_fma_f64 v[4:5], v[10:11], v[8:9], -v[4:5]
	ds_read_b128 v[6:9], v140 offset:2304
	s_mul_i32 s6, s5, 0x300
	v_accvgpr_read_b32 v18, a52
	v_mul_f64 v[2:3], v[2:3], s[0:1]
	v_mul_f64 v[4:5], v[4:5], s[0:1]
	v_add_u32_e32 v15, s6, v15
	v_accvgpr_read_b32 v20, a54
	v_accvgpr_read_b32 v21, a55
	global_store_dwordx4 v[14:15], v[2:5], off
	ds_read_b128 v[2:5], v140 offset:2688
	v_accvgpr_read_b32 v19, a53
	s_waitcnt lgkmcnt(1)
	v_mul_f64 v[10:11], v[20:21], v[8:9]
	v_fmac_f64_e32 v[10:11], v[18:19], v[6:7]
	v_mul_f64 v[6:7], v[20:21], v[6:7]
	v_fma_f64 v[6:7], v[18:19], v[8:9], -v[6:7]
	v_mul_f64 v[10:11], v[10:11], s[0:1]
	v_mul_f64 v[12:13], v[6:7], s[0:1]
	v_lshl_add_u64 v[14:15], v[14:15], 0, s[2:3]
	global_store_dwordx4 v[14:15], v[10:13], off
	v_accvgpr_read_b32 v8, a48
	v_accvgpr_read_b32 v9, a49
	;; [unrolled: 1-line block ×4, first 2 shown]
	s_waitcnt lgkmcnt(0)
	v_mul_f64 v[6:7], v[10:11], v[4:5]
	v_fmac_f64_e32 v[6:7], v[8:9], v[2:3]
	v_mul_f64 v[2:3], v[10:11], v[2:3]
	v_fma_f64 v[8:9], v[8:9], v[4:5], -v[2:3]
	ds_read_b128 v[2:5], v140 offset:3072
	v_accvgpr_read_b32 v18, a40
	v_mul_f64 v[6:7], v[6:7], s[0:1]
	v_mul_f64 v[8:9], v[8:9], s[0:1]
	v_lshl_add_u64 v[14:15], v[14:15], 0, s[2:3]
	v_accvgpr_read_b32 v20, a42
	v_accvgpr_read_b32 v21, a43
	global_store_dwordx4 v[14:15], v[6:9], off
	ds_read_b128 v[6:9], v140 offset:3456
	v_accvgpr_read_b32 v19, a41
	s_waitcnt lgkmcnt(1)
	v_mul_f64 v[10:11], v[20:21], v[4:5]
	v_fmac_f64_e32 v[10:11], v[18:19], v[2:3]
	v_mul_f64 v[2:3], v[20:21], v[2:3]
	v_fma_f64 v[2:3], v[18:19], v[4:5], -v[2:3]
	v_accvgpr_read_b32 v5, a35              ;  Reload Reuse
	v_mul_f64 v[12:13], v[2:3], s[0:1]
	v_mad_u64_u32 v[2:3], s[8:9], s4, v5, 0
	v_mov_b32_e32 v4, v3
	v_mad_u64_u32 v[4:5], s[8:9], s5, v5, v[4:5]
	v_mov_b32_e32 v3, v4
	v_mul_f64 v[10:11], v[10:11], s[0:1]
	v_lshl_add_u64 v[2:3], v[2:3], 4, v[0:1]
	global_store_dwordx4 v[2:3], v[10:13], off
	v_mad_u64_u32 v[14:15], s[8:9], s4, v16, v[14:15]
	s_nop 0
	v_accvgpr_read_b32 v10, a26
	v_accvgpr_read_b32 v12, a28
	v_accvgpr_read_b32 v13, a29
	v_accvgpr_read_b32 v11, a27
	s_waitcnt lgkmcnt(0)
	v_mul_f64 v[2:3], v[12:13], v[8:9]
	v_mul_f64 v[4:5], v[12:13], v[6:7]
	v_fmac_f64_e32 v[2:3], v[10:11], v[6:7]
	v_fma_f64 v[4:5], v[10:11], v[8:9], -v[4:5]
	ds_read_b128 v[6:9], v140 offset:3840
	v_accvgpr_read_b32 v21, a13
	v_mul_f64 v[2:3], v[2:3], s[0:1]
	v_mul_f64 v[4:5], v[4:5], s[0:1]
	v_add_u32_e32 v15, s6, v15
	v_accvgpr_read_b32 v20, a12
	global_store_dwordx4 v[14:15], v[2:5], off
	ds_read_b128 v[2:5], v140 offset:4224
	v_accvgpr_read_b32 v19, a11
	v_accvgpr_read_b32 v18, a10
	s_waitcnt lgkmcnt(1)
	v_mul_f64 v[10:11], v[20:21], v[8:9]
	v_fmac_f64_e32 v[10:11], v[18:19], v[6:7]
	v_mul_f64 v[6:7], v[20:21], v[6:7]
	v_fma_f64 v[6:7], v[18:19], v[8:9], -v[6:7]
	v_mul_f64 v[10:11], v[10:11], s[0:1]
	v_mul_f64 v[12:13], v[6:7], s[0:1]
	v_lshl_add_u64 v[14:15], v[14:15], 0, s[2:3]
	global_store_dwordx4 v[14:15], v[10:13], off
	v_accvgpr_read_b32 v8, a44
	v_accvgpr_read_b32 v9, a45
	;; [unrolled: 1-line block ×4, first 2 shown]
	s_waitcnt lgkmcnt(0)
	v_mul_f64 v[6:7], v[10:11], v[4:5]
	v_fmac_f64_e32 v[6:7], v[8:9], v[2:3]
	v_mul_f64 v[2:3], v[10:11], v[2:3]
	v_fma_f64 v[8:9], v[8:9], v[4:5], -v[2:3]
	ds_read_b128 v[2:5], v140 offset:4608
	v_accvgpr_read_b32 v18, a18
	v_mul_f64 v[6:7], v[6:7], s[0:1]
	v_mul_f64 v[8:9], v[8:9], s[0:1]
	v_lshl_add_u64 v[14:15], v[14:15], 0, s[2:3]
	v_accvgpr_read_b32 v20, a20
	v_accvgpr_read_b32 v21, a21
	global_store_dwordx4 v[14:15], v[6:9], off
	ds_read_b128 v[6:9], v140 offset:4992
	v_accvgpr_read_b32 v19, a19
	s_waitcnt lgkmcnt(1)
	v_mul_f64 v[10:11], v[20:21], v[4:5]
	v_fmac_f64_e32 v[10:11], v[18:19], v[2:3]
	v_mul_f64 v[2:3], v[20:21], v[2:3]
	v_fma_f64 v[2:3], v[18:19], v[4:5], -v[2:3]
	scratch_load_dword v5, off, off         ; 4-byte Folded Reload
	v_mul_f64 v[12:13], v[2:3], s[0:1]
	v_mul_f64 v[10:11], v[10:11], s[0:1]
	v_mad_u64_u32 v[14:15], s[8:9], s4, v16, v[14:15]
	v_accvgpr_read_b32 v16, a36
	v_add_u32_e32 v15, s6, v15
	v_accvgpr_read_b32 v18, a38
	v_accvgpr_read_b32 v19, a39
	;; [unrolled: 1-line block ×3, first 2 shown]
	s_waitcnt vmcnt(0)
	v_mad_u64_u32 v[2:3], s[8:9], s4, v5, 0
	v_mov_b32_e32 v4, v3
	v_mad_u64_u32 v[4:5], s[8:9], s5, v5, v[4:5]
	v_mov_b32_e32 v3, v4
	v_lshl_add_u64 v[2:3], v[2:3], 4, v[0:1]
	global_store_dwordx4 v[2:3], v[10:13], off
	s_nop 1
	v_accvgpr_read_b32 v10, a22
	v_accvgpr_read_b32 v12, a24
	;; [unrolled: 1-line block ×4, first 2 shown]
	s_waitcnt lgkmcnt(0)
	v_mul_f64 v[2:3], v[12:13], v[8:9]
	v_mul_f64 v[4:5], v[12:13], v[6:7]
	v_fmac_f64_e32 v[2:3], v[10:11], v[6:7]
	v_fma_f64 v[4:5], v[10:11], v[8:9], -v[4:5]
	ds_read_b128 v[6:9], v140 offset:5376
	v_mul_f64 v[2:3], v[2:3], s[0:1]
	v_mul_f64 v[4:5], v[4:5], s[0:1]
	global_store_dwordx4 v[14:15], v[2:5], off
	ds_read_b128 v[2:5], v140 offset:5760
	s_waitcnt lgkmcnt(1)
	v_mul_f64 v[10:11], v[18:19], v[8:9]
	v_fmac_f64_e32 v[10:11], v[16:17], v[6:7]
	v_mul_f64 v[6:7], v[18:19], v[6:7]
	v_fma_f64 v[6:7], v[16:17], v[8:9], -v[6:7]
	v_mul_f64 v[10:11], v[10:11], s[0:1]
	v_mul_f64 v[12:13], v[6:7], s[0:1]
	v_lshl_add_u64 v[14:15], v[14:15], 0, s[2:3]
	global_store_dwordx4 v[14:15], v[10:13], off
	v_accvgpr_read_b32 v8, a14
	v_accvgpr_read_b32 v9, a15
	;; [unrolled: 1-line block ×4, first 2 shown]
	s_waitcnt lgkmcnt(0)
	v_mul_f64 v[6:7], v[10:11], v[4:5]
	v_fmac_f64_e32 v[6:7], v[8:9], v[2:3]
	v_mul_f64 v[2:3], v[10:11], v[2:3]
	v_fma_f64 v[2:3], v[8:9], v[4:5], -v[2:3]
	v_mul_f64 v[8:9], v[2:3], s[0:1]
	v_lshl_add_u64 v[2:3], v[14:15], 0, s[2:3]
	scratch_load_dwordx4 v[14:17], off, off offset:16 ; 16-byte Folded Reload
	ds_read_b128 v[10:13], v140 offset:6144
	v_mul_f64 v[6:7], v[6:7], s[0:1]
	global_store_dwordx4 v[2:3], v[6:9], off
	s_waitcnt vmcnt(1) lgkmcnt(0)
	v_mul_f64 v[4:5], v[16:17], v[12:13]
	v_fmac_f64_e32 v[4:5], v[14:15], v[10:11]
	v_mul_f64 v[6:7], v[16:17], v[10:11]
	scratch_load_dword v11, off, off offset:4 ; 4-byte Folded Reload
	v_fma_f64 v[6:7], v[14:15], v[12:13], -v[6:7]
	v_mul_f64 v[4:5], v[4:5], s[0:1]
	v_mul_f64 v[6:7], v[6:7], s[0:1]
	s_waitcnt vmcnt(0)
	v_mad_u64_u32 v[8:9], s[6:7], s4, v11, 0
	v_mov_b32_e32 v10, v9
	v_mad_u64_u32 v[10:11], s[6:7], s5, v11, v[10:11]
	v_mov_b32_e32 v9, v10
	v_lshl_add_u64 v[0:1], v[8:9], 4, v[0:1]
	global_store_dwordx4 v[0:1], v[4:7], off
	s_and_b64 exec, exec, vcc
	s_cbranch_execz .LBB0_15
; %bb.14:
	scratch_load_dwordx2 v[18:19], off, off offset:8 ; 8-byte Folded Reload
	v_mov_b32_e32 v0, 0xffffea90
	s_mulk_i32 s5, 0xea90
	v_mad_u64_u32 v[16:17], s[6:7], s4, v0, v[2:3]
	s_sub_i32 s4, s5, s4
	v_add_u32_e32 v17, s4, v17
	s_movk_i32 s4, 0x1000
	s_waitcnt vmcnt(0)
	global_load_dwordx4 v[4:7], v[18:19], off offset:272
	ds_read_b128 v[8:11], v140 offset:272
	ds_read_b128 v[12:15], v140 offset:656
	s_waitcnt vmcnt(0) lgkmcnt(1)
	v_mul_f64 v[0:1], v[10:11], v[6:7]
	v_mul_f64 v[2:3], v[8:9], v[6:7]
	v_fmac_f64_e32 v[0:1], v[8:9], v[4:5]
	v_fma_f64 v[2:3], v[4:5], v[10:11], -v[2:3]
	v_mul_f64 v[0:1], v[0:1], s[0:1]
	v_mul_f64 v[2:3], v[2:3], s[0:1]
	global_store_dwordx4 v[16:17], v[0:3], off
	global_load_dwordx4 v[0:3], v[18:19], off offset:656
	v_lshl_add_u64 v[16:17], v[16:17], 0, s[2:3]
	s_waitcnt vmcnt(0) lgkmcnt(0)
	v_mul_f64 v[4:5], v[14:15], v[2:3]
	v_mul_f64 v[2:3], v[12:13], v[2:3]
	v_fmac_f64_e32 v[4:5], v[12:13], v[0:1]
	v_fma_f64 v[2:3], v[0:1], v[14:15], -v[2:3]
	v_mul_f64 v[0:1], v[4:5], s[0:1]
	v_mul_f64 v[2:3], v[2:3], s[0:1]
	global_store_dwordx4 v[16:17], v[0:3], off
	global_load_dwordx4 v[0:3], v[18:19], off offset:1040
	ds_read_b128 v[4:7], v140 offset:1040
	ds_read_b128 v[8:11], v140 offset:1424
	v_lshl_add_u64 v[12:13], v[16:17], 0, s[2:3]
	s_waitcnt vmcnt(0) lgkmcnt(1)
	v_mul_f64 v[14:15], v[6:7], v[2:3]
	v_mul_f64 v[2:3], v[4:5], v[2:3]
	v_fmac_f64_e32 v[14:15], v[4:5], v[0:1]
	v_fma_f64 v[2:3], v[0:1], v[6:7], -v[2:3]
	v_mul_f64 v[0:1], v[14:15], s[0:1]
	v_mul_f64 v[2:3], v[2:3], s[0:1]
	global_store_dwordx4 v[12:13], v[0:3], off
	global_load_dwordx4 v[0:3], v[18:19], off offset:1424
	v_lshl_add_u64 v[12:13], v[12:13], 0, s[2:3]
	s_waitcnt vmcnt(0) lgkmcnt(0)
	v_mul_f64 v[4:5], v[10:11], v[2:3]
	v_mul_f64 v[2:3], v[8:9], v[2:3]
	v_fmac_f64_e32 v[4:5], v[8:9], v[0:1]
	v_fma_f64 v[2:3], v[0:1], v[10:11], -v[2:3]
	v_mul_f64 v[0:1], v[4:5], s[0:1]
	v_mul_f64 v[2:3], v[2:3], s[0:1]
	global_store_dwordx4 v[12:13], v[0:3], off
	global_load_dwordx4 v[0:3], v[18:19], off offset:1808
	ds_read_b128 v[4:7], v140 offset:1808
	ds_read_b128 v[8:11], v140 offset:2192
	v_lshl_add_u64 v[12:13], v[12:13], 0, s[2:3]
	;; [unrolled: 22-line block ×4, first 2 shown]
	s_waitcnt vmcnt(0) lgkmcnt(1)
	v_mul_f64 v[14:15], v[6:7], v[2:3]
	v_mul_f64 v[2:3], v[4:5], v[2:3]
	v_fmac_f64_e32 v[14:15], v[4:5], v[0:1]
	v_fma_f64 v[2:3], v[0:1], v[6:7], -v[2:3]
	v_mul_f64 v[0:1], v[14:15], s[0:1]
	v_mul_f64 v[2:3], v[2:3], s[0:1]
	global_store_dwordx4 v[12:13], v[0:3], off
	global_load_dwordx4 v[0:3], v[18:19], off offset:3728
	v_add_co_u32_e32 v14, vcc, s4, v18
	v_lshl_add_u64 v[12:13], v[12:13], 0, s[2:3]
	s_nop 0
	v_addc_co_u32_e32 v15, vcc, 0, v19, vcc
	s_waitcnt vmcnt(0) lgkmcnt(0)
	v_mul_f64 v[4:5], v[10:11], v[2:3]
	v_mul_f64 v[2:3], v[8:9], v[2:3]
	v_fmac_f64_e32 v[4:5], v[8:9], v[0:1]
	v_fma_f64 v[2:3], v[0:1], v[10:11], -v[2:3]
	v_mul_f64 v[0:1], v[4:5], s[0:1]
	v_mul_f64 v[2:3], v[2:3], s[0:1]
	global_store_dwordx4 v[12:13], v[0:3], off
	global_load_dwordx4 v[0:3], v[14:15], off offset:16
	ds_read_b128 v[4:7], v140 offset:4112
	ds_read_b128 v[8:11], v140 offset:4496
	v_lshl_add_u64 v[12:13], v[12:13], 0, s[2:3]
	s_waitcnt vmcnt(0) lgkmcnt(1)
	v_mul_f64 v[16:17], v[6:7], v[2:3]
	v_mul_f64 v[2:3], v[4:5], v[2:3]
	v_fmac_f64_e32 v[16:17], v[4:5], v[0:1]
	v_fma_f64 v[2:3], v[0:1], v[6:7], -v[2:3]
	v_mul_f64 v[0:1], v[16:17], s[0:1]
	v_mul_f64 v[2:3], v[2:3], s[0:1]
	global_store_dwordx4 v[12:13], v[0:3], off
	global_load_dwordx4 v[0:3], v[14:15], off offset:400
	v_lshl_add_u64 v[12:13], v[12:13], 0, s[2:3]
	s_waitcnt vmcnt(0) lgkmcnt(0)
	v_mul_f64 v[4:5], v[10:11], v[2:3]
	v_mul_f64 v[2:3], v[8:9], v[2:3]
	v_fmac_f64_e32 v[4:5], v[8:9], v[0:1]
	v_fma_f64 v[2:3], v[0:1], v[10:11], -v[2:3]
	v_mul_f64 v[0:1], v[4:5], s[0:1]
	v_mul_f64 v[2:3], v[2:3], s[0:1]
	global_store_dwordx4 v[12:13], v[0:3], off
	global_load_dwordx4 v[0:3], v[14:15], off offset:784
	ds_read_b128 v[4:7], v140 offset:4880
	ds_read_b128 v[8:11], v140 offset:5264
	v_lshl_add_u64 v[12:13], v[12:13], 0, s[2:3]
	s_waitcnt vmcnt(0) lgkmcnt(1)
	v_mul_f64 v[16:17], v[6:7], v[2:3]
	v_mul_f64 v[2:3], v[4:5], v[2:3]
	v_fmac_f64_e32 v[16:17], v[4:5], v[0:1]
	v_fma_f64 v[2:3], v[0:1], v[6:7], -v[2:3]
	v_mul_f64 v[0:1], v[16:17], s[0:1]
	v_mul_f64 v[2:3], v[2:3], s[0:1]
	global_store_dwordx4 v[12:13], v[0:3], off
	global_load_dwordx4 v[0:3], v[14:15], off offset:1168
	v_lshl_add_u64 v[12:13], v[12:13], 0, s[2:3]
	s_waitcnt vmcnt(0) lgkmcnt(0)
	v_mul_f64 v[4:5], v[10:11], v[2:3]
	v_mul_f64 v[2:3], v[8:9], v[2:3]
	v_fmac_f64_e32 v[4:5], v[8:9], v[0:1]
	v_fma_f64 v[2:3], v[0:1], v[10:11], -v[2:3]
	v_mul_f64 v[0:1], v[4:5], s[0:1]
	v_mul_f64 v[2:3], v[2:3], s[0:1]
	global_store_dwordx4 v[12:13], v[0:3], off
	global_load_dwordx4 v[0:3], v[14:15], off offset:1552
	ds_read_b128 v[4:7], v140 offset:5648
	ds_read_b128 v[8:11], v140 offset:6032
	v_lshl_add_u64 v[12:13], v[12:13], 0, s[2:3]
	s_waitcnt vmcnt(0) lgkmcnt(1)
	v_mul_f64 v[16:17], v[6:7], v[2:3]
	v_mul_f64 v[2:3], v[4:5], v[2:3]
	v_fmac_f64_e32 v[16:17], v[4:5], v[0:1]
	v_fma_f64 v[2:3], v[0:1], v[6:7], -v[2:3]
	v_mul_f64 v[0:1], v[16:17], s[0:1]
	v_mul_f64 v[2:3], v[2:3], s[0:1]
	global_store_dwordx4 v[12:13], v[0:3], off
	global_load_dwordx4 v[0:3], v[14:15], off offset:1936
	v_lshl_add_u64 v[12:13], v[12:13], 0, s[2:3]
	s_waitcnt vmcnt(0) lgkmcnt(0)
	v_mul_f64 v[4:5], v[10:11], v[2:3]
	v_mul_f64 v[2:3], v[8:9], v[2:3]
	v_fmac_f64_e32 v[4:5], v[8:9], v[0:1]
	v_fma_f64 v[2:3], v[0:1], v[10:11], -v[2:3]
	v_mul_f64 v[0:1], v[4:5], s[0:1]
	v_mul_f64 v[2:3], v[2:3], s[0:1]
	global_store_dwordx4 v[12:13], v[0:3], off
	global_load_dwordx4 v[0:3], v[14:15], off offset:2320
	ds_read_b128 v[4:7], v140 offset:6416
	s_waitcnt vmcnt(0) lgkmcnt(0)
	v_mul_f64 v[8:9], v[6:7], v[2:3]
	v_mul_f64 v[2:3], v[4:5], v[2:3]
	v_fmac_f64_e32 v[8:9], v[4:5], v[0:1]
	v_fma_f64 v[2:3], v[0:1], v[6:7], -v[2:3]
	v_mul_f64 v[0:1], v[8:9], s[0:1]
	v_mul_f64 v[2:3], v[2:3], s[0:1]
	v_lshl_add_u64 v[4:5], v[12:13], 0, s[2:3]
	global_store_dwordx4 v[4:5], v[0:3], off
.LBB0_15:
	s_endpgm
	.section	.rodata,"a",@progbits
	.p2align	6, 0x0
	.amdhsa_kernel bluestein_single_back_len408_dim1_dp_op_CI_CI
		.amdhsa_group_segment_fixed_size 19584
		.amdhsa_private_segment_fixed_size 36
		.amdhsa_kernarg_size 104
		.amdhsa_user_sgpr_count 2
		.amdhsa_user_sgpr_dispatch_ptr 0
		.amdhsa_user_sgpr_queue_ptr 0
		.amdhsa_user_sgpr_kernarg_segment_ptr 1
		.amdhsa_user_sgpr_dispatch_id 0
		.amdhsa_user_sgpr_kernarg_preload_length 0
		.amdhsa_user_sgpr_kernarg_preload_offset 0
		.amdhsa_user_sgpr_private_segment_size 0
		.amdhsa_uses_dynamic_stack 0
		.amdhsa_enable_private_segment 1
		.amdhsa_system_sgpr_workgroup_id_x 1
		.amdhsa_system_sgpr_workgroup_id_y 0
		.amdhsa_system_sgpr_workgroup_id_z 0
		.amdhsa_system_sgpr_workgroup_info 0
		.amdhsa_system_vgpr_workitem_id 0
		.amdhsa_next_free_vgpr 512
		.amdhsa_next_free_sgpr 60
		.amdhsa_accum_offset 256
		.amdhsa_reserve_vcc 1
		.amdhsa_float_round_mode_32 0
		.amdhsa_float_round_mode_16_64 0
		.amdhsa_float_denorm_mode_32 3
		.amdhsa_float_denorm_mode_16_64 3
		.amdhsa_dx10_clamp 1
		.amdhsa_ieee_mode 1
		.amdhsa_fp16_overflow 0
		.amdhsa_tg_split 0
		.amdhsa_exception_fp_ieee_invalid_op 0
		.amdhsa_exception_fp_denorm_src 0
		.amdhsa_exception_fp_ieee_div_zero 0
		.amdhsa_exception_fp_ieee_overflow 0
		.amdhsa_exception_fp_ieee_underflow 0
		.amdhsa_exception_fp_ieee_inexact 0
		.amdhsa_exception_int_div_zero 0
	.end_amdhsa_kernel
	.text
.Lfunc_end0:
	.size	bluestein_single_back_len408_dim1_dp_op_CI_CI, .Lfunc_end0-bluestein_single_back_len408_dim1_dp_op_CI_CI
                                        ; -- End function
	.section	.AMDGPU.csdata,"",@progbits
; Kernel info:
; codeLenInByte = 46680
; NumSgprs: 66
; NumVgprs: 256
; NumAgprs: 256
; TotalNumVgprs: 512
; ScratchSize: 36
; MemoryBound: 0
; FloatMode: 240
; IeeeMode: 1
; LDSByteSize: 19584 bytes/workgroup (compile time only)
; SGPRBlocks: 8
; VGPRBlocks: 63
; NumSGPRsForWavesPerEU: 66
; NumVGPRsForWavesPerEU: 512
; AccumOffset: 256
; Occupancy: 1
; WaveLimiterHint : 1
; COMPUTE_PGM_RSRC2:SCRATCH_EN: 1
; COMPUTE_PGM_RSRC2:USER_SGPR: 2
; COMPUTE_PGM_RSRC2:TRAP_HANDLER: 0
; COMPUTE_PGM_RSRC2:TGID_X_EN: 1
; COMPUTE_PGM_RSRC2:TGID_Y_EN: 0
; COMPUTE_PGM_RSRC2:TGID_Z_EN: 0
; COMPUTE_PGM_RSRC2:TIDIG_COMP_CNT: 0
; COMPUTE_PGM_RSRC3_GFX90A:ACCUM_OFFSET: 63
; COMPUTE_PGM_RSRC3_GFX90A:TG_SPLIT: 0
	.text
	.p2alignl 6, 3212836864
	.fill 256, 4, 3212836864
	.type	__hip_cuid_3e41339aa15a7348,@object ; @__hip_cuid_3e41339aa15a7348
	.section	.bss,"aw",@nobits
	.globl	__hip_cuid_3e41339aa15a7348
__hip_cuid_3e41339aa15a7348:
	.byte	0                               ; 0x0
	.size	__hip_cuid_3e41339aa15a7348, 1

	.ident	"AMD clang version 19.0.0git (https://github.com/RadeonOpenCompute/llvm-project roc-6.4.0 25133 c7fe45cf4b819c5991fe208aaa96edf142730f1d)"
	.section	".note.GNU-stack","",@progbits
	.addrsig
	.addrsig_sym __hip_cuid_3e41339aa15a7348
	.amdgpu_metadata
---
amdhsa.kernels:
  - .agpr_count:     256
    .args:
      - .actual_access:  read_only
        .address_space:  global
        .offset:         0
        .size:           8
        .value_kind:     global_buffer
      - .actual_access:  read_only
        .address_space:  global
        .offset:         8
        .size:           8
        .value_kind:     global_buffer
      - .actual_access:  read_only
        .address_space:  global
        .offset:         16
        .size:           8
        .value_kind:     global_buffer
      - .actual_access:  read_only
        .address_space:  global
        .offset:         24
        .size:           8
        .value_kind:     global_buffer
      - .actual_access:  read_only
        .address_space:  global
        .offset:         32
        .size:           8
        .value_kind:     global_buffer
      - .offset:         40
        .size:           8
        .value_kind:     by_value
      - .address_space:  global
        .offset:         48
        .size:           8
        .value_kind:     global_buffer
      - .address_space:  global
        .offset:         56
        .size:           8
        .value_kind:     global_buffer
      - .address_space:  global
        .offset:         64
        .size:           8
        .value_kind:     global_buffer
      - .address_space:  global
        .offset:         72
        .size:           8
        .value_kind:     global_buffer
      - .offset:         80
        .size:           4
        .value_kind:     by_value
      - .address_space:  global
        .offset:         88
        .size:           8
        .value_kind:     global_buffer
      - .address_space:  global
        .offset:         96
        .size:           8
        .value_kind:     global_buffer
    .group_segment_fixed_size: 19584
    .kernarg_segment_align: 8
    .kernarg_segment_size: 104
    .language:       OpenCL C
    .language_version:
      - 2
      - 0
    .max_flat_workgroup_size: 51
    .name:           bluestein_single_back_len408_dim1_dp_op_CI_CI
    .private_segment_fixed_size: 36
    .sgpr_count:     66
    .sgpr_spill_count: 0
    .symbol:         bluestein_single_back_len408_dim1_dp_op_CI_CI.kd
    .uniform_work_group_size: 1
    .uses_dynamic_stack: false
    .vgpr_count:     512
    .vgpr_spill_count: 10
    .wavefront_size: 64
amdhsa.target:   amdgcn-amd-amdhsa--gfx950
amdhsa.version:
  - 1
  - 2
...

	.end_amdgpu_metadata
